;; amdgpu-corpus repo=ROCm/rocFFT kind=compiled arch=gfx1201 opt=O3
	.text
	.amdgcn_target "amdgcn-amd-amdhsa--gfx1201"
	.amdhsa_code_object_version 6
	.protected	fft_rtc_fwd_len1512_factors_2_2_2_3_3_3_7_wgs_63_tpt_63_halfLds_sp_op_CI_CI_unitstride_sbrr_C2R_dirReg ; -- Begin function fft_rtc_fwd_len1512_factors_2_2_2_3_3_3_7_wgs_63_tpt_63_halfLds_sp_op_CI_CI_unitstride_sbrr_C2R_dirReg
	.globl	fft_rtc_fwd_len1512_factors_2_2_2_3_3_3_7_wgs_63_tpt_63_halfLds_sp_op_CI_CI_unitstride_sbrr_C2R_dirReg
	.p2align	8
	.type	fft_rtc_fwd_len1512_factors_2_2_2_3_3_3_7_wgs_63_tpt_63_halfLds_sp_op_CI_CI_unitstride_sbrr_C2R_dirReg,@function
fft_rtc_fwd_len1512_factors_2_2_2_3_3_3_7_wgs_63_tpt_63_halfLds_sp_op_CI_CI_unitstride_sbrr_C2R_dirReg: ; @fft_rtc_fwd_len1512_factors_2_2_2_3_3_3_7_wgs_63_tpt_63_halfLds_sp_op_CI_CI_unitstride_sbrr_C2R_dirReg
; %bb.0:
	s_clause 0x2
	s_load_b128 s[8:11], s[0:1], 0x0
	s_load_b128 s[4:7], s[0:1], 0x58
	;; [unrolled: 1-line block ×3, first 2 shown]
	v_mul_u32_u24_e32 v1, 0x411, v0
	v_mov_b32_e32 v3, 0
	s_delay_alu instid0(VALU_DEP_2) | instskip(NEXT) | instid1(VALU_DEP_1)
	v_lshrrev_b32_e32 v1, 16, v1
	v_add_nc_u32_e32 v5, ttmp9, v1
	v_mov_b32_e32 v1, 0
	v_mov_b32_e32 v2, 0
	;; [unrolled: 1-line block ×3, first 2 shown]
	s_wait_kmcnt 0x0
	v_cmp_lt_u64_e64 s2, s[10:11], 2
	s_delay_alu instid0(VALU_DEP_1)
	s_and_b32 vcc_lo, exec_lo, s2
	s_cbranch_vccnz .LBB0_8
; %bb.1:
	s_load_b64 s[2:3], s[0:1], 0x10
	v_mov_b32_e32 v1, 0
	v_mov_b32_e32 v2, 0
	s_add_nc_u64 s[16:17], s[14:15], 8
	s_add_nc_u64 s[18:19], s[12:13], 8
	s_mov_b64 s[20:21], 1
	s_delay_alu instid0(VALU_DEP_1)
	v_dual_mov_b32 v57, v2 :: v_dual_mov_b32 v56, v1
	s_wait_kmcnt 0x0
	s_add_nc_u64 s[22:23], s[2:3], 8
	s_mov_b32 s3, 0
.LBB0_2:                                ; =>This Inner Loop Header: Depth=1
	s_load_b64 s[24:25], s[22:23], 0x0
                                        ; implicit-def: $vgpr60_vgpr61
	s_mov_b32 s2, exec_lo
	s_wait_kmcnt 0x0
	v_or_b32_e32 v4, s25, v6
	s_delay_alu instid0(VALU_DEP_1)
	v_cmpx_ne_u64_e32 0, v[3:4]
	s_wait_alu 0xfffe
	s_xor_b32 s26, exec_lo, s2
	s_cbranch_execz .LBB0_4
; %bb.3:                                ;   in Loop: Header=BB0_2 Depth=1
	s_cvt_f32_u32 s2, s24
	s_cvt_f32_u32 s27, s25
	s_sub_nc_u64 s[30:31], 0, s[24:25]
	s_wait_alu 0xfffe
	s_delay_alu instid0(SALU_CYCLE_1) | instskip(SKIP_1) | instid1(SALU_CYCLE_2)
	s_fmamk_f32 s2, s27, 0x4f800000, s2
	s_wait_alu 0xfffe
	v_s_rcp_f32 s2, s2
	s_delay_alu instid0(TRANS32_DEP_1) | instskip(SKIP_1) | instid1(SALU_CYCLE_2)
	s_mul_f32 s2, s2, 0x5f7ffffc
	s_wait_alu 0xfffe
	s_mul_f32 s27, s2, 0x2f800000
	s_wait_alu 0xfffe
	s_delay_alu instid0(SALU_CYCLE_2) | instskip(SKIP_1) | instid1(SALU_CYCLE_2)
	s_trunc_f32 s27, s27
	s_wait_alu 0xfffe
	s_fmamk_f32 s2, s27, 0xcf800000, s2
	s_cvt_u32_f32 s29, s27
	s_wait_alu 0xfffe
	s_delay_alu instid0(SALU_CYCLE_1) | instskip(SKIP_1) | instid1(SALU_CYCLE_2)
	s_cvt_u32_f32 s28, s2
	s_wait_alu 0xfffe
	s_mul_u64 s[34:35], s[30:31], s[28:29]
	s_wait_alu 0xfffe
	s_mul_hi_u32 s37, s28, s35
	s_mul_i32 s36, s28, s35
	s_mul_hi_u32 s2, s28, s34
	s_mul_i32 s33, s29, s34
	s_wait_alu 0xfffe
	s_add_nc_u64 s[36:37], s[2:3], s[36:37]
	s_mul_hi_u32 s27, s29, s34
	s_mul_hi_u32 s38, s29, s35
	s_add_co_u32 s2, s36, s33
	s_wait_alu 0xfffe
	s_add_co_ci_u32 s2, s37, s27
	s_mul_i32 s34, s29, s35
	s_add_co_ci_u32 s35, s38, 0
	s_wait_alu 0xfffe
	s_add_nc_u64 s[34:35], s[2:3], s[34:35]
	s_wait_alu 0xfffe
	v_add_co_u32 v4, s2, s28, s34
	s_delay_alu instid0(VALU_DEP_1) | instskip(SKIP_1) | instid1(VALU_DEP_1)
	s_cmp_lg_u32 s2, 0
	s_add_co_ci_u32 s29, s29, s35
	v_readfirstlane_b32 s28, v4
	s_wait_alu 0xfffe
	s_delay_alu instid0(VALU_DEP_1)
	s_mul_u64 s[30:31], s[30:31], s[28:29]
	s_wait_alu 0xfffe
	s_mul_hi_u32 s35, s28, s31
	s_mul_i32 s34, s28, s31
	s_mul_hi_u32 s2, s28, s30
	s_mul_i32 s33, s29, s30
	s_wait_alu 0xfffe
	s_add_nc_u64 s[34:35], s[2:3], s[34:35]
	s_mul_hi_u32 s27, s29, s30
	s_mul_hi_u32 s28, s29, s31
	s_wait_alu 0xfffe
	s_add_co_u32 s2, s34, s33
	s_add_co_ci_u32 s2, s35, s27
	s_mul_i32 s30, s29, s31
	s_add_co_ci_u32 s31, s28, 0
	s_wait_alu 0xfffe
	s_add_nc_u64 s[30:31], s[2:3], s[30:31]
	s_wait_alu 0xfffe
	v_add_co_u32 v4, s2, v4, s30
	s_delay_alu instid0(VALU_DEP_1) | instskip(SKIP_1) | instid1(VALU_DEP_1)
	s_cmp_lg_u32 s2, 0
	s_add_co_ci_u32 s2, s29, s31
	v_mul_hi_u32 v13, v5, v4
	s_wait_alu 0xfffe
	v_mad_co_u64_u32 v[7:8], null, v5, s2, 0
	v_mad_co_u64_u32 v[9:10], null, v6, v4, 0
	;; [unrolled: 1-line block ×3, first 2 shown]
	s_delay_alu instid0(VALU_DEP_3) | instskip(SKIP_1) | instid1(VALU_DEP_4)
	v_add_co_u32 v4, vcc_lo, v13, v7
	s_wait_alu 0xfffd
	v_add_co_ci_u32_e32 v7, vcc_lo, 0, v8, vcc_lo
	s_delay_alu instid0(VALU_DEP_2) | instskip(SKIP_1) | instid1(VALU_DEP_2)
	v_add_co_u32 v4, vcc_lo, v4, v9
	s_wait_alu 0xfffd
	v_add_co_ci_u32_e32 v4, vcc_lo, v7, v10, vcc_lo
	s_wait_alu 0xfffd
	v_add_co_ci_u32_e32 v7, vcc_lo, 0, v12, vcc_lo
	s_delay_alu instid0(VALU_DEP_2) | instskip(SKIP_1) | instid1(VALU_DEP_2)
	v_add_co_u32 v4, vcc_lo, v4, v11
	s_wait_alu 0xfffd
	v_add_co_ci_u32_e32 v9, vcc_lo, 0, v7, vcc_lo
	s_delay_alu instid0(VALU_DEP_2) | instskip(SKIP_1) | instid1(VALU_DEP_3)
	v_mul_lo_u32 v10, s25, v4
	v_mad_co_u64_u32 v[7:8], null, s24, v4, 0
	v_mul_lo_u32 v11, s24, v9
	s_delay_alu instid0(VALU_DEP_2) | instskip(NEXT) | instid1(VALU_DEP_2)
	v_sub_co_u32 v7, vcc_lo, v5, v7
	v_add3_u32 v8, v8, v11, v10
	s_delay_alu instid0(VALU_DEP_1) | instskip(SKIP_1) | instid1(VALU_DEP_1)
	v_sub_nc_u32_e32 v10, v6, v8
	s_wait_alu 0xfffd
	v_subrev_co_ci_u32_e64 v10, s2, s25, v10, vcc_lo
	v_add_co_u32 v11, s2, v4, 2
	s_wait_alu 0xf1ff
	v_add_co_ci_u32_e64 v12, s2, 0, v9, s2
	v_sub_co_u32 v13, s2, v7, s24
	v_sub_co_ci_u32_e32 v8, vcc_lo, v6, v8, vcc_lo
	s_wait_alu 0xf1ff
	v_subrev_co_ci_u32_e64 v10, s2, 0, v10, s2
	s_delay_alu instid0(VALU_DEP_3) | instskip(NEXT) | instid1(VALU_DEP_3)
	v_cmp_le_u32_e32 vcc_lo, s24, v13
	v_cmp_eq_u32_e64 s2, s25, v8
	s_wait_alu 0xfffd
	v_cndmask_b32_e64 v13, 0, -1, vcc_lo
	v_cmp_le_u32_e32 vcc_lo, s25, v10
	s_wait_alu 0xfffd
	v_cndmask_b32_e64 v14, 0, -1, vcc_lo
	v_cmp_le_u32_e32 vcc_lo, s24, v7
	;; [unrolled: 3-line block ×3, first 2 shown]
	s_wait_alu 0xfffd
	v_cndmask_b32_e64 v15, 0, -1, vcc_lo
	v_cmp_eq_u32_e32 vcc_lo, s25, v10
	s_wait_alu 0xf1ff
	s_delay_alu instid0(VALU_DEP_2)
	v_cndmask_b32_e64 v7, v15, v7, s2
	s_wait_alu 0xfffd
	v_cndmask_b32_e32 v10, v14, v13, vcc_lo
	v_add_co_u32 v13, vcc_lo, v4, 1
	s_wait_alu 0xfffd
	v_add_co_ci_u32_e32 v14, vcc_lo, 0, v9, vcc_lo
	s_delay_alu instid0(VALU_DEP_3) | instskip(SKIP_1) | instid1(VALU_DEP_2)
	v_cmp_ne_u32_e32 vcc_lo, 0, v10
	s_wait_alu 0xfffd
	v_cndmask_b32_e32 v8, v14, v12, vcc_lo
	v_cndmask_b32_e32 v10, v13, v11, vcc_lo
	v_cmp_ne_u32_e32 vcc_lo, 0, v7
	s_wait_alu 0xfffd
	s_delay_alu instid0(VALU_DEP_2)
	v_dual_cndmask_b32 v61, v9, v8 :: v_dual_cndmask_b32 v60, v4, v10
.LBB0_4:                                ;   in Loop: Header=BB0_2 Depth=1
	s_wait_alu 0xfffe
	s_and_not1_saveexec_b32 s2, s26
	s_cbranch_execz .LBB0_6
; %bb.5:                                ;   in Loop: Header=BB0_2 Depth=1
	v_cvt_f32_u32_e32 v4, s24
	s_sub_co_i32 s26, 0, s24
	v_mov_b32_e32 v61, v3
	s_delay_alu instid0(VALU_DEP_2) | instskip(NEXT) | instid1(TRANS32_DEP_1)
	v_rcp_iflag_f32_e32 v4, v4
	v_mul_f32_e32 v4, 0x4f7ffffe, v4
	s_delay_alu instid0(VALU_DEP_1) | instskip(SKIP_1) | instid1(VALU_DEP_1)
	v_cvt_u32_f32_e32 v4, v4
	s_wait_alu 0xfffe
	v_mul_lo_u32 v7, s26, v4
	s_delay_alu instid0(VALU_DEP_1) | instskip(NEXT) | instid1(VALU_DEP_1)
	v_mul_hi_u32 v7, v4, v7
	v_add_nc_u32_e32 v4, v4, v7
	s_delay_alu instid0(VALU_DEP_1) | instskip(NEXT) | instid1(VALU_DEP_1)
	v_mul_hi_u32 v4, v5, v4
	v_mul_lo_u32 v7, v4, s24
	v_add_nc_u32_e32 v8, 1, v4
	s_delay_alu instid0(VALU_DEP_2) | instskip(NEXT) | instid1(VALU_DEP_1)
	v_sub_nc_u32_e32 v7, v5, v7
	v_subrev_nc_u32_e32 v9, s24, v7
	v_cmp_le_u32_e32 vcc_lo, s24, v7
	s_wait_alu 0xfffd
	s_delay_alu instid0(VALU_DEP_2) | instskip(NEXT) | instid1(VALU_DEP_1)
	v_dual_cndmask_b32 v7, v7, v9 :: v_dual_cndmask_b32 v4, v4, v8
	v_cmp_le_u32_e32 vcc_lo, s24, v7
	s_delay_alu instid0(VALU_DEP_2) | instskip(SKIP_1) | instid1(VALU_DEP_1)
	v_add_nc_u32_e32 v8, 1, v4
	s_wait_alu 0xfffd
	v_cndmask_b32_e32 v60, v4, v8, vcc_lo
.LBB0_6:                                ;   in Loop: Header=BB0_2 Depth=1
	s_wait_alu 0xfffe
	s_or_b32 exec_lo, exec_lo, s2
	v_mul_lo_u32 v4, v61, s24
	s_delay_alu instid0(VALU_DEP_2)
	v_mul_lo_u32 v9, v60, s25
	s_load_b64 s[26:27], s[18:19], 0x0
	v_mad_co_u64_u32 v[7:8], null, v60, s24, 0
	s_load_b64 s[24:25], s[16:17], 0x0
	s_add_nc_u64 s[20:21], s[20:21], 1
	s_add_nc_u64 s[16:17], s[16:17], 8
	s_wait_alu 0xfffe
	v_cmp_ge_u64_e64 s2, s[20:21], s[10:11]
	s_add_nc_u64 s[18:19], s[18:19], 8
	s_add_nc_u64 s[22:23], s[22:23], 8
	v_add3_u32 v4, v8, v9, v4
	v_sub_co_u32 v5, vcc_lo, v5, v7
	s_wait_alu 0xfffd
	s_delay_alu instid0(VALU_DEP_2) | instskip(SKIP_2) | instid1(VALU_DEP_1)
	v_sub_co_ci_u32_e32 v4, vcc_lo, v6, v4, vcc_lo
	s_and_b32 vcc_lo, exec_lo, s2
	s_wait_kmcnt 0x0
	v_mul_lo_u32 v6, s26, v4
	v_mul_lo_u32 v7, s27, v5
	v_mad_co_u64_u32 v[1:2], null, s26, v5, v[1:2]
	v_mul_lo_u32 v4, s24, v4
	v_mul_lo_u32 v8, s25, v5
	v_mad_co_u64_u32 v[56:57], null, s24, v5, v[56:57]
	s_delay_alu instid0(VALU_DEP_4) | instskip(NEXT) | instid1(VALU_DEP_2)
	v_add3_u32 v2, v7, v2, v6
	v_add3_u32 v57, v8, v57, v4
	s_wait_alu 0xfffe
	s_cbranch_vccnz .LBB0_9
; %bb.7:                                ;   in Loop: Header=BB0_2 Depth=1
	v_dual_mov_b32 v5, v60 :: v_dual_mov_b32 v6, v61
	s_branch .LBB0_2
.LBB0_8:
	v_dual_mov_b32 v57, v2 :: v_dual_mov_b32 v56, v1
	v_dual_mov_b32 v61, v6 :: v_dual_mov_b32 v60, v5
.LBB0_9:
	s_load_b64 s[0:1], s[0:1], 0x28
	v_mul_hi_u32 v3, 0x4104105, v0
	s_lshl_b64 s[10:11], s[10:11], 3
                                        ; implicit-def: $vgpr58
	s_wait_alu 0xfffe
	s_add_nc_u64 s[2:3], s[14:15], s[10:11]
	s_wait_kmcnt 0x0
	v_cmp_gt_u64_e32 vcc_lo, s[0:1], v[60:61]
	v_cmp_le_u64_e64 s0, s[0:1], v[60:61]
	s_delay_alu instid0(VALU_DEP_1)
	s_and_saveexec_b32 s1, s0
	s_wait_alu 0xfffe
	s_xor_b32 s0, exec_lo, s1
; %bb.10:
	v_mul_u32_u24_e32 v1, 63, v3
                                        ; implicit-def: $vgpr3
	s_delay_alu instid0(VALU_DEP_1)
	v_sub_nc_u32_e32 v58, v0, v1
                                        ; implicit-def: $vgpr0
                                        ; implicit-def: $vgpr1_vgpr2
; %bb.11:
	s_wait_alu 0xfffe
	s_or_saveexec_b32 s1, s0
	s_load_b64 s[2:3], s[2:3], 0x0
	s_xor_b32 exec_lo, exec_lo, s1
	s_cbranch_execz .LBB0_15
; %bb.12:
	s_add_nc_u64 s[10:11], s[12:13], s[10:11]
	v_lshlrev_b64_e32 v[1:2], 3, v[1:2]
	s_load_b64 s[10:11], s[10:11], 0x0
	s_wait_kmcnt 0x0
	v_mul_lo_u32 v6, s11, v60
	v_mul_lo_u32 v7, s10, v61
	v_mad_co_u64_u32 v[4:5], null, s10, v60, 0
	s_delay_alu instid0(VALU_DEP_1) | instskip(SKIP_1) | instid1(VALU_DEP_2)
	v_add3_u32 v5, v5, v7, v6
	v_mul_u32_u24_e32 v6, 63, v3
	v_lshlrev_b64_e32 v[3:4], 3, v[4:5]
	s_delay_alu instid0(VALU_DEP_2) | instskip(NEXT) | instid1(VALU_DEP_1)
	v_sub_nc_u32_e32 v58, v0, v6
	v_lshlrev_b32_e32 v50, 3, v58
	s_delay_alu instid0(VALU_DEP_3) | instskip(SKIP_1) | instid1(VALU_DEP_4)
	v_add_co_u32 v0, s0, s4, v3
	s_wait_alu 0xf1ff
	v_add_co_ci_u32_e64 v3, s0, s5, v4, s0
	s_delay_alu instid0(VALU_DEP_2) | instskip(SKIP_1) | instid1(VALU_DEP_2)
	v_add_co_u32 v0, s0, v0, v1
	s_wait_alu 0xf1ff
	v_add_co_ci_u32_e64 v1, s0, v3, v2, s0
	s_delay_alu instid0(VALU_DEP_2) | instskip(SKIP_1) | instid1(VALU_DEP_2)
	v_add_co_u32 v2, s0, v0, v50
	s_wait_alu 0xf1ff
	v_add_co_ci_u32_e64 v3, s0, 0, v1, s0
	s_clause 0x17
	global_load_b64 v[4:5], v[2:3], off
	global_load_b64 v[6:7], v[2:3], off offset:504
	global_load_b64 v[8:9], v[2:3], off offset:1008
	global_load_b64 v[10:11], v[2:3], off offset:1512
	global_load_b64 v[12:13], v[2:3], off offset:2016
	global_load_b64 v[14:15], v[2:3], off offset:2520
	global_load_b64 v[16:17], v[2:3], off offset:3024
	global_load_b64 v[18:19], v[2:3], off offset:3528
	global_load_b64 v[20:21], v[2:3], off offset:4032
	global_load_b64 v[22:23], v[2:3], off offset:4536
	global_load_b64 v[24:25], v[2:3], off offset:5040
	global_load_b64 v[26:27], v[2:3], off offset:5544
	global_load_b64 v[28:29], v[2:3], off offset:6048
	global_load_b64 v[30:31], v[2:3], off offset:6552
	global_load_b64 v[32:33], v[2:3], off offset:7056
	global_load_b64 v[34:35], v[2:3], off offset:7560
	global_load_b64 v[36:37], v[2:3], off offset:8064
	global_load_b64 v[38:39], v[2:3], off offset:8568
	global_load_b64 v[40:41], v[2:3], off offset:9072
	global_load_b64 v[42:43], v[2:3], off offset:9576
	global_load_b64 v[44:45], v[2:3], off offset:10080
	global_load_b64 v[46:47], v[2:3], off offset:10584
	global_load_b64 v[48:49], v[2:3], off offset:11088
	global_load_b64 v[2:3], v[2:3], off offset:11592
	v_add_nc_u32_e32 v50, 0, v50
	v_cmp_eq_u32_e64 s0, 62, v58
	s_delay_alu instid0(VALU_DEP_2)
	v_add_nc_u32_e32 v51, 0x400, v50
	v_add_nc_u32_e32 v52, 0x800, v50
	;; [unrolled: 1-line block ×10, first 2 shown]
	s_wait_loadcnt 0x16
	ds_store_2addr_b64 v50, v[4:5], v[6:7] offset1:63
	s_wait_loadcnt 0x14
	ds_store_2addr_b64 v50, v[8:9], v[10:11] offset0:126 offset1:189
	s_wait_loadcnt 0x12
	ds_store_2addr_b64 v51, v[12:13], v[14:15] offset0:124 offset1:187
	;; [unrolled: 2-line block ×11, first 2 shown]
	s_and_saveexec_b32 s4, s0
	s_cbranch_execz .LBB0_14
; %bb.13:
	global_load_b64 v[0:1], v[0:1], off offset:12096
	v_mov_b32_e32 v2, 0
	v_mov_b32_e32 v58, 62
	s_wait_loadcnt 0x0
	ds_store_b64 v2, v[0:1] offset:12096
.LBB0_14:
	s_wait_alu 0xfffe
	s_or_b32 exec_lo, exec_lo, s4
.LBB0_15:
	s_delay_alu instid0(SALU_CYCLE_1)
	s_or_b32 exec_lo, exec_lo, s1
	v_lshlrev_b32_e32 v0, 3, v58
	global_wb scope:SCOPE_SE
	s_wait_dscnt 0x0
	s_wait_kmcnt 0x0
	s_barrier_signal -1
	s_barrier_wait -1
	global_inv scope:SCOPE_SE
	v_add_nc_u32_e32 v64, 0, v0
	v_sub_nc_u32_e32 v4, 0, v0
	s_mov_b32 s1, exec_lo
                                        ; implicit-def: $vgpr2_vgpr3
	ds_load_b32 v5, v64
	ds_load_b32 v6, v4 offset:12096
	s_wait_dscnt 0x0
	v_dual_sub_f32 v1, v5, v6 :: v_dual_add_f32 v0, v6, v5
	v_cmpx_ne_u32_e32 0, v58
	s_wait_alu 0xfffe
	s_xor_b32 s1, exec_lo, s1
	s_cbranch_execz .LBB0_17
; %bb.16:
	v_dual_mov_b32 v59, 0 :: v_dual_sub_f32 v8, v5, v6
	s_delay_alu instid0(VALU_DEP_1) | instskip(NEXT) | instid1(VALU_DEP_1)
	v_lshlrev_b64_e32 v[0:1], 3, v[58:59]
	v_add_co_u32 v0, s0, s8, v0
	s_wait_alu 0xf1ff
	s_delay_alu instid0(VALU_DEP_2)
	v_add_co_ci_u32_e64 v1, s0, s9, v1, s0
	global_load_b64 v[2:3], v[0:1], off offset:12080
	ds_load_b32 v0, v4 offset:12100
	ds_load_b32 v1, v64 offset:4
	v_add_f32_e32 v7, v6, v5
	s_wait_dscnt 0x0
	v_dual_add_f32 v9, v0, v1 :: v_dual_sub_f32 v0, v1, v0
	s_wait_loadcnt 0x0
	s_delay_alu instid0(VALU_DEP_2) | instskip(NEXT) | instid1(VALU_DEP_2)
	v_fma_f32 v5, -v8, v3, v7
	v_fma_f32 v6, v9, v3, -v0
	v_fma_f32 v10, v8, v3, v7
	v_fma_f32 v1, v9, v3, v0
	s_delay_alu instid0(VALU_DEP_3) | instskip(NEXT) | instid1(VALU_DEP_3)
	v_dual_fmac_f32 v5, v2, v9 :: v_dual_fmac_f32 v6, v8, v2
	v_fma_f32 v0, -v2, v9, v10
	s_delay_alu instid0(VALU_DEP_3)
	v_dual_fmac_f32 v1, v8, v2 :: v_dual_mov_b32 v2, v58
	v_mov_b32_e32 v3, v59
	ds_store_b64 v4, v[5:6] offset:12096
.LBB0_17:
	s_wait_alu 0xfffe
	s_and_not1_saveexec_b32 s0, s1
	s_cbranch_execz .LBB0_19
; %bb.18:
	v_mov_b32_e32 v7, 0
	ds_load_b64 v[2:3], v7 offset:6048
	s_wait_dscnt 0x0
	v_dual_mul_f32 v6, -2.0, v3 :: v_dual_add_f32 v5, v2, v2
	v_mov_b32_e32 v2, 0
	v_mov_b32_e32 v3, 0
	ds_store_b64 v7, v[5:6] offset:6048
.LBB0_19:
	s_wait_alu 0xfffe
	s_or_b32 exec_lo, exec_lo, s0
	v_lshlrev_b64_e32 v[2:3], 3, v[2:3]
	s_add_nc_u64 s[0:1], s[8:9], 0x2f30
	v_lshl_add_u32 v55, v58, 4, 0
	v_add_nc_u32_e32 v42, 63, v58
	v_add_nc_u32_e32 v40, 0xfc, v58
	v_add_nc_u32_e32 v38, 0x1b9, v58
	s_wait_alu 0xfffe
	v_add_co_u32 v2, s0, s0, v2
	s_wait_alu 0xf1ff
	v_add_co_ci_u32_e64 v3, s0, s1, v3, s0
	s_clause 0x6
	global_load_b64 v[5:6], v[2:3], off offset:504
	global_load_b64 v[7:8], v[2:3], off offset:1008
	;; [unrolled: 1-line block ×7, first 2 shown]
	ds_store_b64 v64, v[0:1]
	ds_load_b64 v[0:1], v64 offset:504
	ds_load_b64 v[19:20], v4 offset:11592
	global_load_b64 v[21:22], v[2:3], off offset:4032
	v_lshl_add_u32 v84, v42, 4, 0
	v_lshl_add_u32 v87, v40, 4, 0
	v_cmp_gt_u32_e64 s0, 9, v58
	v_lshl_add_u32 v90, v38, 4, 0
	v_add_nc_u32_e32 v41, 0x7e, v58
	v_add_nc_u32_e32 v68, 0x1800, v64
	;; [unrolled: 1-line block ×5, first 2 shown]
	v_lshl_add_u32 v85, v41, 4, 0
	s_wait_dscnt 0x0
	v_dual_add_f32 v23, v0, v19 :: v_dual_add_nc_u32 v70, 0x1000, v64
	v_add_f32_e32 v24, v20, v1
	v_dual_sub_f32 v25, v0, v19 :: v_dual_sub_f32 v0, v1, v20
	s_wait_loadcnt 0x7
	s_delay_alu instid0(VALU_DEP_1) | instskip(NEXT) | instid1(VALU_DEP_2)
	v_fma_f32 v26, v25, v6, v23
	v_fma_f32 v1, v24, v6, v0
	v_fma_f32 v19, -v25, v6, v23
	v_fma_f32 v20, v24, v6, -v0
	s_delay_alu instid0(VALU_DEP_4) | instskip(NEXT) | instid1(VALU_DEP_4)
	v_fma_f32 v0, -v5, v24, v26
	v_fmac_f32_e32 v1, v25, v5
	s_delay_alu instid0(VALU_DEP_4) | instskip(NEXT) | instid1(VALU_DEP_4)
	v_fmac_f32_e32 v19, v5, v24
	v_fmac_f32_e32 v20, v25, v5
	ds_store_b64 v64, v[0:1] offset:504
	ds_store_b64 v4, v[19:20] offset:11592
	ds_load_b64 v[0:1], v64 offset:1008
	ds_load_b64 v[5:6], v4 offset:11088
	global_load_b64 v[19:20], v[2:3], off offset:4536
	s_wait_dscnt 0x0
	v_add_f32_e32 v23, v0, v5
	v_add_f32_e32 v24, v6, v1
	v_dual_sub_f32 v25, v0, v5 :: v_dual_sub_f32 v0, v1, v6
	s_wait_loadcnt 0x7
	s_delay_alu instid0(VALU_DEP_1) | instskip(NEXT) | instid1(VALU_DEP_2)
	v_fma_f32 v26, v25, v8, v23
	v_fma_f32 v1, v24, v8, v0
	v_fma_f32 v5, -v25, v8, v23
	v_fma_f32 v6, v24, v8, -v0
	s_delay_alu instid0(VALU_DEP_4) | instskip(NEXT) | instid1(VALU_DEP_4)
	v_fma_f32 v0, -v7, v24, v26
	v_fmac_f32_e32 v1, v25, v7
	s_delay_alu instid0(VALU_DEP_3)
	v_dual_fmac_f32 v5, v7, v24 :: v_dual_fmac_f32 v6, v25, v7
	ds_store_b64 v64, v[0:1] offset:1008
	ds_store_b64 v4, v[5:6] offset:11088
	ds_load_b64 v[0:1], v64 offset:1512
	ds_load_b64 v[5:6], v4 offset:10584
	global_load_b64 v[7:8], v[2:3], off offset:5040
	s_wait_dscnt 0x0
	v_add_f32_e32 v23, v0, v5
	v_add_f32_e32 v24, v6, v1
	v_dual_sub_f32 v25, v0, v5 :: v_dual_sub_f32 v0, v1, v6
	s_wait_loadcnt 0x7
	s_delay_alu instid0(VALU_DEP_1) | instskip(NEXT) | instid1(VALU_DEP_2)
	v_fma_f32 v26, v25, v10, v23
	v_fma_f32 v1, v24, v10, v0
	v_fma_f32 v5, -v25, v10, v23
	v_fma_f32 v6, v24, v10, -v0
	s_delay_alu instid0(VALU_DEP_4) | instskip(NEXT) | instid1(VALU_DEP_4)
	v_fma_f32 v0, -v9, v24, v26
	v_fmac_f32_e32 v1, v25, v9
	s_delay_alu instid0(VALU_DEP_4) | instskip(NEXT) | instid1(VALU_DEP_4)
	v_fmac_f32_e32 v5, v9, v24
	v_fmac_f32_e32 v6, v25, v9
	ds_store_b64 v64, v[0:1] offset:1512
	ds_store_b64 v4, v[5:6] offset:10584
	ds_load_b64 v[0:1], v64 offset:2016
	ds_load_b64 v[5:6], v4 offset:10080
	global_load_b64 v[2:3], v[2:3], off offset:5544
	s_wait_dscnt 0x0
	v_add_f32_e32 v9, v0, v5
	v_add_f32_e32 v10, v6, v1
	v_dual_sub_f32 v23, v0, v5 :: v_dual_sub_f32 v0, v1, v6
	s_wait_loadcnt 0x7
	s_delay_alu instid0(VALU_DEP_1) | instskip(NEXT) | instid1(VALU_DEP_2)
	v_fma_f32 v24, v23, v12, v9
	v_fma_f32 v1, v10, v12, v0
	v_fma_f32 v5, -v23, v12, v9
	v_fma_f32 v6, v10, v12, -v0
	s_delay_alu instid0(VALU_DEP_4) | instskip(NEXT) | instid1(VALU_DEP_4)
	v_fma_f32 v0, -v11, v10, v24
	v_fmac_f32_e32 v1, v23, v11
	s_delay_alu instid0(VALU_DEP_4) | instskip(NEXT) | instid1(VALU_DEP_4)
	v_fmac_f32_e32 v5, v11, v10
	v_fmac_f32_e32 v6, v23, v11
	ds_store_b64 v64, v[0:1] offset:2016
	ds_store_b64 v4, v[5:6] offset:10080
	ds_load_b64 v[0:1], v64 offset:2520
	ds_load_b64 v[5:6], v4 offset:9576
	s_wait_dscnt 0x0
	v_add_f32_e32 v10, v6, v1
	v_add_f32_e32 v9, v0, v5
	v_dual_sub_f32 v11, v0, v5 :: v_dual_sub_f32 v0, v1, v6
	s_wait_loadcnt 0x6
	s_delay_alu instid0(VALU_DEP_1) | instskip(NEXT) | instid1(VALU_DEP_2)
	v_fma_f32 v12, v11, v14, v9
	v_fma_f32 v1, v10, v14, v0
	v_fma_f32 v5, -v11, v14, v9
	v_fma_f32 v6, v10, v14, -v0
	s_delay_alu instid0(VALU_DEP_4) | instskip(NEXT) | instid1(VALU_DEP_4)
	v_fma_f32 v0, -v13, v10, v12
	v_fmac_f32_e32 v1, v11, v13
	s_delay_alu instid0(VALU_DEP_3)
	v_dual_fmac_f32 v5, v13, v10 :: v_dual_fmac_f32 v6, v11, v13
	ds_store_b64 v64, v[0:1] offset:2520
	ds_store_b64 v4, v[5:6] offset:9576
	ds_load_b64 v[0:1], v64 offset:3024
	ds_load_b64 v[5:6], v4 offset:9072
	s_wait_dscnt 0x0
	v_add_f32_e32 v9, v0, v5
	v_sub_f32_e32 v11, v0, v5
	v_add_f32_e32 v10, v6, v1
	v_sub_f32_e32 v0, v1, v6
	s_wait_loadcnt 0x5
	s_delay_alu instid0(VALU_DEP_3) | instskip(SKIP_1) | instid1(VALU_DEP_3)
	v_fma_f32 v12, v11, v16, v9
	v_fma_f32 v5, -v11, v16, v9
	v_fma_f32 v1, v10, v16, v0
	s_delay_alu instid0(VALU_DEP_1) | instskip(SKIP_3) | instid1(VALU_DEP_3)
	v_fmac_f32_e32 v1, v11, v15
	v_fma_f32 v6, v10, v16, -v0
	v_fma_f32 v0, -v15, v10, v12
	v_fmac_f32_e32 v5, v15, v10
	v_fmac_f32_e32 v6, v11, v15
	ds_store_b64 v64, v[0:1] offset:3024
	ds_store_b64 v4, v[5:6] offset:9072
	ds_load_b64 v[0:1], v64 offset:3528
	ds_load_b64 v[5:6], v4 offset:8568
	s_wait_dscnt 0x0
	v_add_f32_e32 v10, v6, v1
	v_add_f32_e32 v9, v0, v5
	v_dual_sub_f32 v11, v0, v5 :: v_dual_sub_f32 v0, v1, v6
	s_wait_loadcnt 0x4
	s_delay_alu instid0(VALU_DEP_1) | instskip(NEXT) | instid1(VALU_DEP_2)
	v_fma_f32 v12, v11, v18, v9
	v_fma_f32 v1, v10, v18, v0
	v_fma_f32 v5, -v11, v18, v9
	v_fma_f32 v6, v10, v18, -v0
	s_delay_alu instid0(VALU_DEP_4) | instskip(NEXT) | instid1(VALU_DEP_4)
	v_fma_f32 v0, -v17, v10, v12
	v_fmac_f32_e32 v1, v11, v17
	s_delay_alu instid0(VALU_DEP_3)
	v_dual_fmac_f32 v5, v17, v10 :: v_dual_fmac_f32 v6, v11, v17
	ds_store_b64 v64, v[0:1] offset:3528
	ds_store_b64 v4, v[5:6] offset:8568
	ds_load_b64 v[0:1], v64 offset:4032
	ds_load_b64 v[5:6], v4 offset:8064
	s_wait_dscnt 0x0
	v_add_f32_e32 v9, v0, v5
	v_add_f32_e32 v10, v6, v1
	v_dual_sub_f32 v11, v0, v5 :: v_dual_sub_f32 v0, v1, v6
	s_wait_loadcnt 0x3
	s_delay_alu instid0(VALU_DEP_1) | instskip(NEXT) | instid1(VALU_DEP_2)
	v_fma_f32 v12, v11, v22, v9
	v_fma_f32 v1, v10, v22, v0
	v_fma_f32 v5, -v11, v22, v9
	v_fma_f32 v6, v10, v22, -v0
	s_delay_alu instid0(VALU_DEP_4) | instskip(NEXT) | instid1(VALU_DEP_4)
	v_fma_f32 v0, -v21, v10, v12
	v_fmac_f32_e32 v1, v11, v21
	s_delay_alu instid0(VALU_DEP_3)
	v_dual_fmac_f32 v5, v21, v10 :: v_dual_fmac_f32 v6, v11, v21
	ds_store_b64 v64, v[0:1] offset:4032
	ds_store_b64 v4, v[5:6] offset:8064
	ds_load_b64 v[0:1], v64 offset:4536
	ds_load_b64 v[5:6], v4 offset:7560
	s_wait_dscnt 0x0
	v_add_f32_e32 v9, v0, v5
	v_add_f32_e32 v10, v6, v1
	v_dual_sub_f32 v11, v0, v5 :: v_dual_sub_f32 v0, v1, v6
	s_wait_loadcnt 0x2
	s_delay_alu instid0(VALU_DEP_1) | instskip(NEXT) | instid1(VALU_DEP_2)
	v_fma_f32 v12, v11, v20, v9
	v_fma_f32 v1, v10, v20, v0
	v_fma_f32 v5, -v11, v20, v9
	v_fma_f32 v6, v10, v20, -v0
	s_delay_alu instid0(VALU_DEP_4) | instskip(NEXT) | instid1(VALU_DEP_4)
	v_fma_f32 v0, -v19, v10, v12
	v_fmac_f32_e32 v1, v11, v19
	s_delay_alu instid0(VALU_DEP_4) | instskip(NEXT) | instid1(VALU_DEP_4)
	v_fmac_f32_e32 v5, v19, v10
	v_fmac_f32_e32 v6, v11, v19
	ds_store_b64 v64, v[0:1] offset:4536
	ds_store_b64 v4, v[5:6] offset:7560
	ds_load_b64 v[0:1], v64 offset:5040
	ds_load_b64 v[5:6], v4 offset:7056
	s_wait_dscnt 0x0
	v_add_f32_e32 v10, v6, v1
	v_add_f32_e32 v9, v0, v5
	v_dual_sub_f32 v11, v0, v5 :: v_dual_sub_f32 v0, v1, v6
	s_wait_loadcnt 0x1
	s_delay_alu instid0(VALU_DEP_1) | instskip(NEXT) | instid1(VALU_DEP_2)
	v_fma_f32 v12, v11, v8, v9
	v_fma_f32 v1, v10, v8, v0
	v_fma_f32 v5, -v11, v8, v9
	v_fma_f32 v6, v10, v8, -v0
	v_add_nc_u32_e32 v8, 0x237, v58
	v_fma_f32 v0, -v7, v10, v12
	v_fmac_f32_e32 v1, v11, v7
	v_fmac_f32_e32 v5, v7, v10
	;; [unrolled: 1-line block ×3, first 2 shown]
	ds_store_b64 v64, v[0:1] offset:5040
	ds_store_b64 v4, v[5:6] offset:7056
	ds_load_b64 v[0:1], v64 offset:5544
	ds_load_b64 v[5:6], v4 offset:6552
	v_add_nc_u32_e32 v59, 0xbd, v58
	v_add_nc_u32_e32 v65, 0x1400, v64
	v_and_b32_e32 v12, 1, v58
	v_add_nc_u32_e32 v10, 0x276, v58
	v_lshl_add_u32 v92, v8, 4, 0
	s_delay_alu instid0(VALU_DEP_2)
	v_lshl_add_u32 v93, v10, 4, 0
	s_wait_dscnt 0x0
	v_add_f32_e32 v7, v0, v5
	v_add_f32_e32 v13, v6, v1
	v_sub_f32_e32 v14, v0, v5
	v_sub_f32_e32 v0, v1, v6
	v_lshl_add_u32 v86, v59, 4, 0
	s_wait_loadcnt 0x0
	s_delay_alu instid0(VALU_DEP_3) | instskip(NEXT) | instid1(VALU_DEP_3)
	v_fma_f32 v15, v14, v3, v7
	v_fma_f32 v1, v13, v3, v0
	v_fma_f32 v5, -v14, v3, v7
	v_fma_f32 v6, v13, v3, -v0
	v_add_nc_u32_e32 v69, 0x800, v64
	v_fma_f32 v0, -v2, v13, v15
	v_fmac_f32_e32 v1, v14, v2
	v_fmac_f32_e32 v5, v2, v13
	;; [unrolled: 1-line block ×3, first 2 shown]
	ds_store_b64 v64, v[0:1] offset:5544
	ds_store_b64 v4, v[5:6] offset:6552
	global_wb scope:SCOPE_SE
	s_wait_dscnt 0x0
	s_barrier_signal -1
	s_barrier_wait -1
	global_inv scope:SCOPE_SE
	global_wb scope:SCOPE_SE
	s_barrier_signal -1
	s_barrier_wait -1
	global_inv scope:SCOPE_SE
	ds_load_2addr_b64 v[0:3], v64 offset1:63
	ds_load_2addr_b64 v[4:7], v65 offset0:116 offset1:179
	ds_load_2addr_b64 v[16:19], v64 offset0:126 offset1:189
	;; [unrolled: 1-line block ×5, first 2 shown]
	v_add_nc_u32_e32 v67, 0x2000, v64
	v_add_nc_u32_e32 v35, 0x2400, v64
	;; [unrolled: 1-line block ×6, first 2 shown]
	v_and_b32_e32 v14, 1, v59
	s_wait_dscnt 0x4
	v_sub_f32_e32 v6, v2, v6
	s_wait_dscnt 0x2
	v_sub_f32_e32 v22, v18, v22
	s_wait_dscnt 0x0
	v_sub_f32_e32 v28, v24, v28
	v_sub_f32_e32 v30, v26, v30
	ds_load_2addr_b64 v[43:46], v69 offset0:122 offset1:185
	ds_load_2addr_b64 v[47:50], v67 offset0:110 offset1:173
	ds_load_2addr_b64 v[51:54], v36 offset0:120 offset1:183
	ds_load_2addr_b64 v[72:75], v35 offset0:108 offset1:171
	ds_load_2addr_b64 v[76:79], v70 offset0:118 offset1:181
	ds_load_2addr_b64 v[80:83], v71 offset0:106 offset1:169
	v_dual_sub_f32 v4, v0, v4 :: v_dual_add_nc_u32 v11, 0x2b5, v58
	v_sub_f32_e32 v5, v1, v5
	v_dual_sub_f32 v7, v3, v7 :: v_dual_sub_f32 v20, v16, v20
	v_sub_f32_e32 v21, v17, v21
	v_sub_f32_e32 v23, v19, v23
	;; [unrolled: 1-line block ×3, first 2 shown]
	v_lshlrev_b32_e32 v95, 3, v12
	v_sub_f32_e32 v31, v27, v31
	v_fma_f32 v0, v0, 2.0, -v4
	v_fma_f32 v2, v2, 2.0, -v6
	;; [unrolled: 1-line block ×5, first 2 shown]
	s_wait_dscnt 0x4
	v_sub_f32_e32 v32, v43, v47
	v_and_b32_e32 v13, 1, v11
	v_sub_f32_e32 v33, v44, v48
	v_dual_sub_f32 v47, v45, v49 :: v_dual_sub_f32 v48, v46, v50
	s_wait_dscnt 0x2
	v_dual_sub_f32 v49, v51, v72 :: v_dual_sub_f32 v50, v52, v73
	v_lshlrev_b32_e32 v96, 3, v13
	v_dual_sub_f32 v62, v53, v74 :: v_dual_sub_f32 v63, v54, v75
	s_wait_dscnt 0x0
	v_dual_sub_f32 v72, v76, v80 :: v_dual_sub_f32 v73, v77, v81
	v_dual_sub_f32 v74, v78, v82 :: v_dual_sub_f32 v75, v79, v83
	v_fma_f32 v1, v1, 2.0, -v5
	v_fma_f32 v18, v18, 2.0, -v22
	;; [unrolled: 1-line block ×5, first 2 shown]
	v_lshl_add_u32 v88, v39, 4, 0
	v_lshl_add_u32 v89, v37, 4, 0
	;; [unrolled: 1-line block ×4, first 2 shown]
	global_wb scope:SCOPE_SE
	s_barrier_signal -1
	s_barrier_wait -1
	global_inv scope:SCOPE_SE
	v_fma_f32 v26, v26, 2.0, -v30
	v_fma_f32 v27, v27, 2.0, -v31
	;; [unrolled: 1-line block ×14, first 2 shown]
	ds_store_2addr_b64 v55, v[0:1], v[4:5] offset1:1
	ds_store_2addr_b64 v84, v[2:3], v[6:7] offset1:1
	;; [unrolled: 1-line block ×12, first 2 shown]
	global_wb scope:SCOPE_SE
	s_wait_dscnt 0x0
	s_barrier_signal -1
	s_barrier_wait -1
	global_inv scope:SCOPE_SE
	s_clause 0x1
	global_load_b64 v[0:1], v96, s[8:9]
	global_load_b64 v[2:3], v95, s[8:9]
	v_lshlrev_b32_e32 v97, 3, v14
	v_and_b32_e32 v15, 1, v42
	v_lshlrev_b32_e32 v88, 1, v42
	v_and_b32_e32 v19, 1, v8
	v_and_b32_e32 v103, 3, v8
	global_load_b64 v[4:5], v97, s[8:9]
	v_lshlrev_b32_e32 v6, 3, v15
	s_clause 0x1
	global_load_b32 v16, v96, s[8:9] offset:4
	global_load_b32 v31, v6, s[8:9]
	v_lshlrev_b32_e32 v96, 1, v8
	v_and_or_b32 v8, 0xfc, v88, v15
	v_lshlrev_b32_e32 v95, 1, v9
	v_lshlrev_b32_e32 v97, 1, v10
	;; [unrolled: 1-line block ×3, first 2 shown]
	v_and_b32_e32 v99, 3, v10
	v_and_b32_e32 v100, 3, v11
	v_lshl_add_u32 v81, v8, 3, 0
	ds_load_2addr_b64 v[8:11], v65 offset0:116 offset1:179
	v_lshlrev_b32_e32 v32, 1, v58
	v_lshlrev_b32_e32 v89, 1, v41
	;; [unrolled: 1-line block ×5, first 2 shown]
	v_and_or_b32 v20, 0x7c, v32, v12
	v_and_or_b32 v15, 0x1fc, v89, v12
	;; [unrolled: 1-line block ×5, first 2 shown]
	v_lshl_add_u32 v33, v20, 3, 0
	v_and_or_b32 v20, 0x3fc, v91, v12
	v_and_or_b32 v23, 0x5fc, v97, v12
	v_lshl_add_u32 v82, v15, 3, 0
	v_lshl_add_u32 v83, v14, 3, 0
	v_and_b32_e32 v18, 1, v38
	v_lshlrev_b32_e32 v92, 1, v39
	v_lshlrev_b32_e32 v94, 1, v38
	v_lshl_add_u32 v84, v20, 3, 0
	v_lshl_add_u32 v86, v21, 3, 0
	;; [unrolled: 1-line block ×4, first 2 shown]
	s_wait_loadcnt_dscnt 0x400
	v_mul_f32_e32 v111, v1, v10
	v_and_or_b32 v24, 0x5fc, v98, v13
	ds_load_2addr_b64 v[12:15], v68 offset0:114 offset1:177
	s_wait_loadcnt 0x3
	v_dual_mul_f32 v112, v3, v8 :: v_dual_and_b32 v17, 1, v39
	v_and_b32_e32 v102, 3, v38
	v_lshl_add_u32 v109, v24, 3, 0
	v_dual_mul_f32 v110, v1, v11 :: v_dual_mul_f32 v1, v3, v9
	s_delay_alu instid0(VALU_DEP_4) | instskip(SKIP_1) | instid1(VALU_DEP_2)
	v_fmac_f32_e32 v112, v2, v9
	s_wait_loadcnt 0x0
	v_fma_f32 v110, v31, v10, -v110
	s_delay_alu instid0(VALU_DEP_3)
	v_fma_f32 v1, v2, v8, -v1
	s_wait_dscnt 0x0
	v_mul_f32_e32 v113, v15, v5
	v_mul_f32_e32 v114, v14, v5
	v_lshlrev_b32_e32 v6, 3, v17
	v_and_or_b32 v17, 0x2fc, v92, v17
	v_and_b32_e32 v55, 3, v58
	v_mul_f32_e32 v115, v3, v12
	v_fmac_f32_e32 v114, v15, v4
	global_load_b64 v[29:30], v6, s[8:9]
	v_lshlrev_b32_e32 v6, 3, v18
	v_and_or_b32 v18, 0x3fc, v94, v18
	v_lshl_add_u32 v85, v17, 3, 0
	global_load_b64 v[62:63], v6, s[8:9]
	v_lshlrev_b32_e32 v6, 3, v19
	v_and_or_b32 v19, 0x4fc, v96, v19
	v_lshl_add_u32 v87, v18, 3, 0
	global_load_b64 v[6:7], v6, s[8:9]
	v_lshl_add_u32 v107, v19, 3, 0
	ds_load_2addr_b64 v[17:20], v66 offset0:112 offset1:175
	ds_load_2addr_b64 v[21:24], v64 offset1:63
	ds_load_2addr_b64 v[25:28], v64 offset0:126 offset1:189
	ds_load_2addr_b64 v[43:46], v67 offset0:110 offset1:173
	;; [unrolled: 1-line block ×6, first 2 shown]
	v_mul_f32_e32 v5, v3, v13
	v_and_b32_e32 v101, 3, v37
	s_wait_dscnt 0x2
	v_dual_fmac_f32 v115, v2, v13 :: v_dual_mul_f32 v116, v51, v3
	v_fmac_f32_e32 v111, v31, v11
	v_fma_f32 v31, v14, v4, -v113
	v_fma_f32 v4, v2, v12, -v5
	ds_load_2addr_b64 v[8:11], v36 offset0:120 offset1:183
	v_fmac_f32_e32 v116, v52, v2
	ds_load_2addr_b64 v[12:15], v70 offset0:118 offset1:181
	v_dual_mul_f32 v113, v18, v3 :: v_dual_sub_f32 v4, v25, v4
	v_mul_f32_e32 v117, v53, v16
	global_wb scope:SCOPE_SE
	s_wait_loadcnt_dscnt 0x0
	s_barrier_signal -1
	s_barrier_wait -1
	global_inv scope:SCOPE_SE
	v_fmac_f32_e32 v117, v54, v0
	v_mul_f32_e32 v5, v20, v30
	v_mul_f32_e32 v30, v19, v30
	s_delay_alu instid0(VALU_DEP_2) | instskip(SKIP_1) | instid1(VALU_DEP_3)
	v_fma_f32 v19, v19, v29, -v5
	v_mul_f32_e32 v5, v46, v63
	v_dual_mul_f32 v63, v45, v63 :: v_dual_fmac_f32 v30, v20, v29
	v_mul_f32_e32 v20, v17, v3
	v_fma_f32 v17, v17, v2, -v113
	s_delay_alu instid0(VALU_DEP_4) | instskip(NEXT) | instid1(VALU_DEP_4)
	v_fma_f32 v45, v45, v62, -v5
	v_dual_fmac_f32 v63, v46, v62 :: v_dual_mul_f32 v46, v47, v3
	v_lshlrev_b32_e32 v104, 3, v99
	v_mul_f32_e32 v62, v49, v7
	v_lshlrev_b32_e32 v80, 3, v101
	s_delay_alu instid0(VALU_DEP_4) | instskip(SKIP_3) | instid1(VALU_DEP_4)
	v_dual_fmac_f32 v46, v48, v2 :: v_dual_lshlrev_b32 v105, 3, v100
	v_fmac_f32_e32 v20, v18, v2
	v_mul_f32_e32 v18, v44, v3
	v_dual_mul_f32 v113, v43, v3 :: v_dual_fmac_f32 v62, v50, v6
	v_dual_sub_f32 v46, v9, v46 :: v_dual_mul_f32 v5, v50, v7
	s_delay_alu instid0(VALU_DEP_3) | instskip(NEXT) | instid1(VALU_DEP_3)
	v_fma_f32 v43, v43, v2, -v18
	v_dual_fmac_f32 v113, v44, v2 :: v_dual_sub_f32 v18, v74, v19
	v_mul_f32_e32 v29, v48, v3
	v_dual_mul_f32 v7, v52, v3 :: v_dual_sub_f32 v50, v13, v116
	v_fma_f32 v48, v49, v6, -v5
	v_dual_sub_f32 v6, v27, v31 :: v_dual_mul_f32 v3, v54, v16
	v_sub_f32_e32 v44, v79, v63
	s_delay_alu instid0(VALU_DEP_4)
	v_fma_f32 v49, v51, v2, -v7
	v_dual_sub_f32 v19, v75, v30 :: v_dual_sub_f32 v30, v77, v113
	v_fma_f32 v47, v47, v2, -v29
	v_fma_f32 v51, v53, v0, -v3
	v_dual_sub_f32 v0, v21, v1 :: v_dual_sub_f32 v1, v22, v112
	v_sub_f32_e32 v52, v15, v117
	v_dual_sub_f32 v2, v23, v110 :: v_dual_sub_f32 v3, v24, v111
	v_sub_f32_e32 v5, v26, v115
	v_sub_f32_e32 v7, v28, v114
	v_dual_sub_f32 v16, v72, v17 :: v_dual_sub_f32 v17, v73, v20
	v_sub_f32_e32 v29, v76, v43
	v_sub_f32_e32 v43, v78, v45
	;; [unrolled: 1-line block ×3, first 2 shown]
	v_dual_sub_f32 v47, v10, v48 :: v_dual_sub_f32 v48, v11, v62
	v_sub_f32_e32 v49, v12, v49
	v_sub_f32_e32 v51, v14, v51
	v_fma_f32 v20, v21, 2.0, -v0
	v_fma_f32 v21, v22, 2.0, -v1
	;; [unrolled: 1-line block ×24, first 2 shown]
	ds_store_2addr_b64 v33, v[20:21], v[0:1] offset1:2
	ds_store_2addr_b64 v81, v[22:23], v[2:3] offset1:2
	;; [unrolled: 1-line block ×12, first 2 shown]
	v_lshlrev_b32_e32 v0, 3, v102
	v_lshlrev_b32_e32 v1, 3, v103
	global_wb scope:SCOPE_SE
	s_wait_dscnt 0x0
	s_barrier_signal -1
	s_barrier_wait -1
	global_inv scope:SCOPE_SE
	s_clause 0x2
	global_load_b64 v[76:77], v105, s[8:9] offset:16
	global_load_b64 v[82:83], v1, s[8:9] offset:16
	;; [unrolled: 1-line block ×3, first 2 shown]
	v_and_b32_e32 v2, 3, v39
	global_load_b64 v[80:81], v0, s[8:9] offset:16
	v_lshlrev_b32_e32 v0, 3, v55
	v_and_b32_e32 v3, 3, v41
	global_load_b64 v[62:63], v104, s[8:9] offset:16
	v_lshlrev_b32_e32 v4, 3, v2
	v_and_or_b32 v2, 0x2f8, v92, v2
	global_load_b64 v[84:85], v0, s[8:9] offset:16
	v_and_b32_e32 v0, 3, v59
	v_lshlrev_b32_e32 v5, 3, v3
	s_clause 0x1
	global_load_b64 v[86:87], v4, s[8:9] offset:16
	global_load_b32 v106, v5, s[8:9] offset:16
	v_lshlrev_b32_e32 v4, 3, v0
	s_clause 0x1
	global_load_b32 v107, v1, s[8:9] offset:20
	global_load_b32 v108, v4, s[8:9] offset:16
	v_and_b32_e32 v5, 3, v42
	v_and_or_b32 v3, 0x1f8, v89, v3
	v_and_or_b32 v0, 0x1f8, v90, v0
	;; [unrolled: 1-line block ×4, first 2 shown]
	v_lshlrev_b32_e32 v1, 3, v5
	s_clause 0x2
	global_load_b32 v104, v104, s[8:9] offset:20
	global_load_b32 v105, v105, s[8:9] offset:20
	;; [unrolled: 1-line block ×3, first 2 shown]
	v_and_or_b32 v1, 0x78, v32, v55
	v_and_or_b32 v7, 0x7f8, v95, v55
	v_and_or_b32 v8, 0x4f8, v96, v103
	v_lshl_add_u32 v90, v3, 3, 0
	v_lshl_add_u32 v91, v0, 3, 0
	;; [unrolled: 1-line block ×3, first 2 shown]
	v_and_or_b32 v1, 0xf8, v88, v5
	v_and_or_b32 v5, 0x3f8, v93, v101
	v_lshl_add_u32 v92, v4, 3, 0
	v_lshl_add_u32 v93, v2, 3, 0
	v_lshl_add_u32 v95, v6, 3, 0
	v_lshl_add_u32 v89, v1, 3, 0
	v_lshl_add_u32 v94, v5, 3, 0
	ds_load_2addr_b64 v[0:3], v68 offset0:114 offset1:177
	v_lshl_add_u32 v96, v7, 3, 0
	ds_load_2addr_b64 v[4:7], v67 offset0:110 offset1:173
	v_and_or_b32 v9, 0x5f8, v97, v99
	v_and_or_b32 v10, 0x5f8, v98, v100
	v_lshl_add_u32 v97, v8, 3, 0
	s_delay_alu instid0(VALU_DEP_3) | instskip(NEXT) | instid1(VALU_DEP_3)
	v_lshl_add_u32 v98, v9, 3, 0
	v_lshl_add_u32 v99, v10, 3, 0
	ds_load_2addr_b64 v[8:11], v65 offset0:116 offset1:179
	ds_load_2addr_b64 v[12:15], v64 offset1:63
	ds_load_2addr_b64 v[16:19], v64 offset0:126 offset1:189
	ds_load_2addr_b64 v[20:23], v34 offset0:124 offset1:187
	;; [unrolled: 1-line block ×8, first 2 shown]
	global_wb scope:SCOPE_SE
	s_wait_loadcnt_dscnt 0x0
	s_barrier_signal -1
	s_barrier_wait -1
	global_inv scope:SCOPE_SE
	v_mul_f32_e32 v112, v83, v11
	v_dual_mul_f32 v102, v5, v79 :: v_dual_mul_f32 v103, v7, v81
	v_mul_f32_e32 v100, v63, v1
	v_mul_f32_e32 v63, v63, v0
	s_delay_alu instid0(VALU_DEP_3) | instskip(SKIP_1) | instid1(VALU_DEP_1)
	v_fma_f32 v102, v4, v78, -v102
	v_mul_f32_e32 v81, v6, v81
	v_fmac_f32_e32 v81, v7, v80
	v_fma_f32 v100, v106, v0, -v100
	v_fmac_f32_e32 v63, v106, v1
	v_mul_f32_e32 v101, v3, v77
	v_mul_f32_e32 v0, v31, v107
	;; [unrolled: 1-line block ×3, first 2 shown]
	v_dual_mul_f32 v79, v4, v79 :: v_dual_mul_f32 v4, v85, v9
	s_delay_alu instid0(VALU_DEP_3) | instskip(NEXT) | instid1(VALU_DEP_3)
	v_fma_f32 v30, v30, v82, -v0
	v_dual_fmac_f32 v106, v31, v82 :: v_dual_mul_f32 v7, v25, v85
	s_delay_alu instid0(VALU_DEP_3)
	v_fmac_f32_e32 v79, v5, v78
	v_mul_f32_e32 v5, v85, v8
	v_fma_f32 v4, v84, v8, -v4
	v_sub_f32_e32 v30, v54, v30
	v_fma_f32 v8, v24, v84, -v7
	v_and_b32_e32 v43, 7, v58
	v_mul_f32_e32 v1, v45, v104
	v_sub_f32_e32 v0, v12, v4
	v_sub_f32_e32 v4, v16, v100
	;; [unrolled: 1-line block ×3, first 2 shown]
	v_fma_f32 v78, v6, v80, -v103
	v_mul_f32_e32 v6, v27, v87
	v_mul_f32_e32 v80, v26, v87
	;; [unrolled: 1-line block ×3, first 2 shown]
	v_fma_f32 v101, v2, v108, -v101
	v_mul_f32_e32 v2, v47, v105
	v_mul_f32_e32 v83, v83, v10
	v_fmac_f32_e32 v80, v27, v86
	v_fmac_f32_e32 v77, v3, v108
	v_fma_f32 v3, v109, v10, -v112
	v_fma_f32 v10, v26, v86, -v6
	v_mul_f32_e32 v105, v46, v105
	v_fma_f32 v46, v46, v76, -v2
	v_mul_f32_e32 v87, v24, v85
	v_mul_f32_e32 v104, v44, v104
	v_fma_f32 v44, v44, v62, -v1
	v_mul_f32_e32 v103, v29, v85
	v_dual_mul_f32 v85, v28, v85 :: v_dual_sub_f32 v10, v22, v10
	v_fmac_f32_e32 v5, v84, v9
	v_dual_sub_f32 v6, v18, v101 :: v_dual_fmac_f32 v83, v109, v11
	v_dual_sub_f32 v46, v74, v46 :: v_dual_fmac_f32 v87, v25, v84
	s_delay_alu instid0(VALU_DEP_4)
	v_fmac_f32_e32 v85, v29, v84
	v_dual_fmac_f32 v104, v45, v62 :: v_dual_fmac_f32 v105, v47, v76
	v_dual_sub_f32 v1, v13, v5 :: v_dual_sub_f32 v44, v72, v44
	v_fma_f32 v28, v28, v84, -v103
	v_dual_sub_f32 v2, v14, v3 :: v_dual_and_b32 v33, 7, v42
	v_sub_f32_e32 v3, v15, v83
	v_sub_f32_e32 v5, v17, v63
	;; [unrolled: 1-line block ×4, first 2 shown]
	v_dual_sub_f32 v11, v23, v80 :: v_dual_lshlrev_b32 v110, 4, v43
	v_sub_f32_e32 v24, v48, v102
	v_dual_sub_f32 v26, v50, v78 :: v_dual_sub_f32 v27, v51, v81
	v_dual_sub_f32 v28, v52, v28 :: v_dual_sub_f32 v25, v49, v79
	v_sub_f32_e32 v29, v53, v85
	v_sub_f32_e32 v31, v55, v106
	;; [unrolled: 1-line block ×4, first 2 shown]
	v_fma_f32 v12, v12, 2.0, -v0
	v_fma_f32 v13, v13, 2.0, -v1
	v_lshlrev_b32_e32 v88, 4, v33
	v_fma_f32 v14, v14, 2.0, -v2
	v_fma_f32 v15, v15, 2.0, -v3
	;; [unrolled: 1-line block ×22, first 2 shown]
	ds_store_2addr_b64 v111, v[12:13], v[0:1] offset1:4
	ds_store_2addr_b64 v89, v[14:15], v[2:3] offset1:4
	;; [unrolled: 1-line block ×12, first 2 shown]
	global_wb scope:SCOPE_SE
	s_wait_dscnt 0x0
	s_barrier_signal -1
	s_barrier_wait -1
	global_inv scope:SCOPE_SE
	s_clause 0x1
	global_load_b128 v[4:7], v110, s[8:9] offset:48
	global_load_b128 v[0:3], v88, s[8:9] offset:48
	v_and_b32_e32 v46, 7, v41
	v_and_b32_e32 v48, 7, v40
	;; [unrolled: 1-line block ×5, first 2 shown]
	v_lshlrev_b32_e32 v8, 4, v46
	v_lshlrev_b32_e32 v16, 4, v48
	;; [unrolled: 1-line block ×4, first 2 shown]
	v_lshrrev_b32_e32 v44, 3, v58
	s_clause 0x1
	global_load_b128 v[12:15], v8, s[8:9] offset:48
	global_load_b128 v[16:19], v16, s[8:9] offset:48
	v_and_b32_e32 v47, 7, v59
	global_load_b128 v[28:31], v20, s[8:9] offset:48
	v_lshlrev_b32_e32 v20, 4, v51
	global_load_b128 v[24:27], v21, s[8:9] offset:48
	v_and_b32_e32 v45, 0xff, v58
	v_lshlrev_b32_e32 v8, 4, v47
	v_mul_u32_u24_e32 v52, 24, v44
	global_load_b128 v[20:23], v20, s[8:9] offset:48
	v_lshrrev_b32_e32 v53, 3, v42
	v_lshrrev_b32_e32 v54, 3, v41
	global_load_b128 v[8:11], v8, s[8:9] offset:48
	v_lshrrev_b32_e32 v55, 3, v59
	v_lshrrev_b32_e32 v72, 3, v37
	v_mul_lo_u16 v74, 0xab, v45
	v_lshrrev_b32_e32 v63, 3, v39
	v_lshrrev_b32_e32 v73, 3, v38
	v_or_b32_e32 v52, v52, v43
	v_mul_u32_u24_e32 v53, 24, v53
	v_mul_u32_u24_e32 v54, 24, v54
	;; [unrolled: 1-line block ×4, first 2 shown]
	v_lshrrev_b16 v43, 12, v74
	v_mul_u32_u24_e32 v63, 24, v63
	v_mul_u32_u24_e32 v73, 24, v73
	v_lshl_add_u32 v105, v52, 3, 0
	v_or_b32_e32 v33, v53, v33
	v_or_b32_e32 v52, v54, v46
	;; [unrolled: 1-line block ×4, first 2 shown]
	v_mul_lo_u16 v50, v43, 24
	v_or_b32_e32 v49, v63, v49
	v_or_b32_e32 v55, v73, v51
	v_lshl_add_u32 v106, v52, 3, 0
	v_lshl_add_u32 v107, v53, 3, 0
	v_sub_nc_u16 v63, v58, v50
	ds_load_2addr_b64 v[50:53], v36 offset0:120 offset1:183
	v_lshl_add_u32 v110, v54, 3, 0
	v_and_b32_e32 v44, 0xff, v41
	v_lshl_add_u32 v111, v55, 3, 0
	v_lshrrev_b32_e32 v62, 3, v40
	v_lshl_add_u32 v109, v49, 3, 0
	v_lshl_add_u32 v33, v33, 3, 0
	v_and_b32_e32 v43, 0xffff, v43
	s_delay_alu instid0(VALU_DEP_4) | instskip(NEXT) | instid1(VALU_DEP_2)
	v_mul_u32_u24_e32 v62, 24, v62
	v_mul_u32_u24_e32 v43, 0x240, v43
	s_delay_alu instid0(VALU_DEP_2) | instskip(NEXT) | instid1(VALU_DEP_1)
	v_or_b32_e32 v48, v62, v48
	v_lshl_add_u32 v108, v48, 3, 0
	s_wait_loadcnt_dscnt 0x700
	v_mul_f32_e32 v54, v5, v51
	v_mul_f32_e32 v55, v5, v50
	s_delay_alu instid0(VALU_DEP_2) | instskip(SKIP_1) | instid1(VALU_DEP_1)
	v_fma_f32 v50, v4, v50, -v54
	v_and_b32_e32 v75, 0xff, v42
	v_mul_lo_u16 v74, 0xab, v75
	v_mul_lo_u16 v75, 0xab, v44
	;; [unrolled: 1-line block ×3, first 2 shown]
	s_delay_alu instid0(VALU_DEP_3) | instskip(NEXT) | instid1(VALU_DEP_3)
	v_lshrrev_b16 v46, 12, v74
	v_lshrrev_b16 v47, 12, v75
	ds_load_2addr_b64 v[72:75], v66 offset0:112 offset1:175
	v_mul_lo_u16 v62, v46, 24
	v_mul_lo_u16 v76, v47, 24
	s_delay_alu instid0(VALU_DEP_2) | instskip(NEXT) | instid1(VALU_DEP_2)
	v_sub_nc_u16 v62, v42, v62
	v_sub_nc_u16 v112, v41, v76
	ds_load_2addr_b64 v[76:79], v64 offset1:63
	ds_load_2addr_b64 v[80:83], v70 offset0:118 offset1:181
	ds_load_2addr_b64 v[84:87], v67 offset0:110 offset1:173
	;; [unrolled: 1-line block ×6, first 2 shown]
	v_and_b32_e32 v45, 0xff, v59
	v_and_b32_e32 v48, 0xff, v62
	s_delay_alu instid0(VALU_DEP_1) | instskip(SKIP_4) | instid1(VALU_DEP_2)
	v_lshlrev_b32_e32 v114, 4, v48
	s_wait_dscnt 0x7
	v_mul_f32_e32 v62, v7, v72
	s_wait_loadcnt_dscnt 0x505
	v_mul_f32_e32 v54, v81, v13
	v_fmac_f32_e32 v62, v6, v73
	s_delay_alu instid0(VALU_DEP_2) | instskip(SKIP_1) | instid1(VALU_DEP_1)
	v_fma_f32 v54, v80, v12, -v54
	v_mul_f32_e32 v115, v1, v52
	v_fmac_f32_e32 v115, v0, v53
	v_fmac_f32_e32 v55, v4, v51
	v_and_b32_e32 v49, 0xff, v63
	v_mul_f32_e32 v63, v1, v53
	v_mul_f32_e32 v1, v75, v3
	s_delay_alu instid0(VALU_DEP_2) | instskip(SKIP_3) | instid1(VALU_DEP_2)
	v_fma_f32 v52, v0, v52, -v63
	v_mul_f32_e32 v63, v80, v13
	v_mul_f32_e32 v5, v7, v73
	s_wait_loadcnt_dscnt 0x4
	v_dual_mul_f32 v80, v87, v11 :: v_dual_fmac_f32 v63, v81, v12
	v_mul_f32_e32 v81, v86, v11
	s_delay_alu instid0(VALU_DEP_3)
	v_fma_f32 v51, v6, v72, -v5
	ds_load_2addr_b64 v[4:7], v64 offset0:126 offset1:189
	v_fma_f32 v72, v74, v2, -v1
	s_wait_dscnt 0x4
	v_mul_f32_e32 v11, v88, v17
	v_fmac_f32_e32 v81, v87, v10
	v_mul_f32_e32 v73, v84, v15
	v_fma_f32 v80, v86, v10, -v80
	s_delay_alu instid0(VALU_DEP_2) | instskip(SKIP_1) | instid1(VALU_DEP_2)
	v_dual_mul_f32 v10, v91, v29 :: v_dual_fmac_f32 v73, v85, v14
	v_mul_f32_e32 v53, v74, v3
	v_fma_f32 v10, v90, v28, -v10
	s_delay_alu instid0(VALU_DEP_2) | instskip(SKIP_3) | instid1(VALU_DEP_2)
	v_fmac_f32_e32 v53, v75, v2
	ds_load_2addr_b64 v[0:3], v34 offset0:124 offset1:187
	v_mul_f32_e32 v75, v83, v9
	v_mul_f32_e32 v9, v82, v9
	v_fma_f32 v75, v82, v8, -v75
	s_delay_alu instid0(VALU_DEP_2) | instskip(SKIP_3) | instid1(VALU_DEP_3)
	v_dual_fmac_f32 v9, v83, v8 :: v_dual_mul_f32 v8, v89, v17
	s_wait_dscnt 0x4
	v_mul_f32_e32 v17, v93, v19
	v_mul_f32_e32 v82, v92, v19
	v_fma_f32 v8, v88, v16, -v8
	s_wait_dscnt 0x1
	v_dual_add_f32 v88, v4, v54 :: v_dual_mul_f32 v19, v90, v29
	v_mul_f32_e32 v13, v85, v15
	v_fma_f32 v85, v92, v18, -v17
	v_add_f32_e32 v92, v6, v75
	v_mul_f32_e32 v29, v95, v31
	v_dual_fmac_f32 v19, v91, v28 :: v_dual_mul_f32 v28, v102, v23
	v_dual_fmac_f32 v82, v93, v18 :: v_dual_mul_f32 v17, v98, v21
	v_mul_f32_e32 v18, v103, v23
	s_delay_alu instid0(VALU_DEP_4) | instskip(NEXT) | instid1(VALU_DEP_4)
	v_fma_f32 v29, v94, v30, -v29
	v_fmac_f32_e32 v28, v103, v22
	s_wait_dscnt 0x0
	v_add_f32_e32 v103, v2, v10
	v_dual_fmac_f32 v11, v89, v16 :: v_dual_mul_f32 v16, v99, v21
	v_fmac_f32_e32 v17, v99, v20
	v_add_f32_e32 v117, v3, v19
	v_sub_f32_e32 v119, v10, v29
	s_delay_alu instid0(VALU_DEP_4)
	v_fma_f32 v23, v98, v20, -v16
	v_add_f32_e32 v98, v8, v85
	v_fma_f32 v74, v84, v14, -v13
	ds_load_2addr_b64 v[12:15], v69 offset0:122 offset1:185
	v_mul_f32_e32 v31, v94, v31
	v_mul_f32_e32 v84, v101, v27
	v_add_f32_e32 v16, v76, v50
	global_wb scope:SCOPE_SE
	s_wait_dscnt 0x0
	s_barrier_signal -1
	v_fmac_f32_e32 v31, v95, v30
	v_fma_f32 v30, v100, v26, -v84
	v_mul_f32_e32 v83, v97, v25
	s_barrier_wait -1
	global_inv scope:SCOPE_SE
	v_sub_f32_e32 v116, v19, v31
	v_add_f32_e32 v93, v75, v80
	v_fma_f32 v21, v96, v24, -v83
	v_fma_f32 v83, v102, v22, -v18
	v_mul_f32_e32 v25, v96, v25
	v_sub_f32_e32 v102, v8, v85
	s_delay_alu instid0(VALU_DEP_4)
	v_dual_sub_f32 v90, v63, v73 :: v_dual_add_f32 v121, v21, v30
	v_add_f32_e32 v118, v19, v31
	v_add_f32_e32 v120, v12, v21
	v_sub_f32_e32 v94, v9, v81
	v_dual_sub_f32 v86, v115, v53 :: v_dual_fmac_f32 v25, v97, v24
	v_dual_sub_f32 v84, v55, v62 :: v_dual_lshlrev_b32 v113, 4, v49
	v_add_f32_e32 v22, v55, v62
	v_fma_f32 v12, -0.5, v121, v12
	v_add_f32_e32 v97, v0, v8
	v_mul_f32_e32 v27, v100, v27
	v_fma_f32 v0, -0.5, v98, v0
	v_add_f32_e32 v89, v54, v74
	v_fma_f32 v19, -0.5, v22, v77
	v_add_f32_e32 v22, v97, v85
	;; [unrolled: 2-line block ×3, first 2 shown]
	v_fma_f32 v4, -0.5, v89, v4
	v_dual_fmac_f32 v27, v101, v26 :: v_dual_add_f32 v18, v50, v51
	v_add_f32_e32 v20, v77, v55
	v_sub_f32_e32 v50, v50, v51
	v_add_f32_e32 v24, v78, v52
	v_dual_add_f32 v55, v52, v72 :: v_dual_add_f32 v26, v79, v115
	v_sub_f32_e32 v52, v52, v72
	v_add_f32_e32 v8, v16, v51
	v_add_f32_e32 v51, v25, v27
	v_fmac_f32_e32 v79, -0.5, v87
	v_add_f32_e32 v115, v10, v29
	v_add_f32_e32 v122, v13, v25
	v_fma_f32 v18, -0.5, v18, v76
	v_fma_f32 v13, -0.5, v51, v13
	v_fmamk_f32 v51, v52, 0xbf5db3d7, v79
	v_dual_fmac_f32 v79, 0x3f5db3d7, v52 :: v_dual_fmamk_f32 v52, v90, 0x3f5db3d7, v4
	v_fmac_f32_e32 v4, 0xbf5db3d7, v90
	v_fma_f32 v78, -0.5, v55, v78
	v_add_f32_e32 v91, v5, v63
	v_dual_sub_f32 v123, v25, v27 :: v_dual_add_f32 v10, v24, v72
	v_sub_f32_e32 v124, v21, v30
	v_add_f32_e32 v24, v103, v29
	v_sub_f32_e32 v99, v11, v82
	v_dual_add_f32 v63, v63, v73 :: v_dual_add_f32 v100, v1, v11
	v_add_f32_e32 v101, v11, v82
	v_dual_add_f32 v11, v26, v53 :: v_dual_add_f32 v26, v120, v30
	v_fma_f32 v2, -0.5, v115, v2
	v_dual_add_f32 v95, v7, v9 :: v_dual_fmamk_f32 v30, v84, 0x3f5db3d7, v18
	v_dual_fmac_f32 v18, 0xbf5db3d7, v84 :: v_dual_add_f32 v25, v117, v31
	v_fmamk_f32 v31, v50, 0xbf5db3d7, v19
	v_dual_fmac_f32 v19, 0x3f5db3d7, v50 :: v_dual_fmamk_f32 v50, v86, 0x3f5db3d7, v78
	v_fmac_f32_e32 v78, 0xbf5db3d7, v86
	v_add_f32_e32 v72, v17, v28
	v_dual_add_f32 v96, v9, v81 :: v_dual_add_f32 v9, v20, v62
	v_add_f32_e32 v62, v15, v17
	v_sub_f32_e32 v54, v54, v74
	v_add_f32_e32 v53, v14, v23
	v_sub_f32_e32 v125, v17, v28
	v_sub_f32_e32 v75, v75, v80
	v_dual_add_f32 v29, v62, v28 :: v_dual_fmamk_f32 v62, v99, 0x3f5db3d7, v0
	v_fmac_f32_e32 v0, 0xbf5db3d7, v99
	v_fma_f32 v5, -0.5, v63, v5
	v_dual_add_f32 v28, v53, v83 :: v_dual_fmac_f32 v7, -0.5, v96
	v_fmac_f32_e32 v3, -0.5, v118
	v_lshrrev_b16 v99, 12, v44
	s_delay_alu instid0(VALU_DEP_4)
	v_fmamk_f32 v53, v54, 0xbf5db3d7, v5
	v_dual_fmac_f32 v5, 0x3f5db3d7, v54 :: v_dual_fmamk_f32 v54, v94, 0x3f5db3d7, v6
	v_dual_fmac_f32 v6, 0xbf5db3d7, v94 :: v_dual_add_f32 v17, v91, v73
	v_dual_add_f32 v73, v23, v83 :: v_dual_and_b32 v44, 0xffff, v46
	v_add_f32_e32 v16, v88, v74
	v_dual_sub_f32 v88, v23, v83 :: v_dual_fmac_f32 v15, -0.5, v72
	s_delay_alu instid0(VALU_DEP_3) | instskip(SKIP_2) | instid1(VALU_DEP_3)
	v_fma_f32 v14, -0.5, v73, v14
	v_fmamk_f32 v72, v116, 0x3f5db3d7, v2
	v_dual_fmac_f32 v2, 0xbf5db3d7, v116 :: v_dual_fmamk_f32 v73, v119, 0xbf5db3d7, v3
	v_dual_fmac_f32 v3, 0x3f5db3d7, v119 :: v_dual_fmamk_f32 v76, v125, 0x3f5db3d7, v14
	v_fmac_f32_e32 v14, 0xbf5db3d7, v125
	v_fma_f32 v1, -0.5, v101, v1
	v_fmamk_f32 v74, v123, 0x3f5db3d7, v12
	v_dual_fmac_f32 v12, 0xbf5db3d7, v123 :: v_dual_fmamk_f32 v55, v75, 0xbf5db3d7, v7
	v_fmac_f32_e32 v7, 0x3f5db3d7, v75
	s_delay_alu instid0(VALU_DEP_4)
	v_fmamk_f32 v63, v102, 0xbf5db3d7, v1
	v_dual_fmac_f32 v1, 0x3f5db3d7, v102 :: v_dual_add_f32 v20, v92, v80
	v_add_f32_e32 v21, v95, v81
	v_add_f32_e32 v23, v100, v82
	;; [unrolled: 1-line block ×3, first 2 shown]
	v_fmamk_f32 v75, v124, 0xbf5db3d7, v13
	v_fmac_f32_e32 v13, 0x3f5db3d7, v124
	v_fmamk_f32 v77, v88, 0xbf5db3d7, v15
	v_fmac_f32_e32 v15, 0x3f5db3d7, v88
	ds_store_2addr_b64 v105, v[8:9], v[30:31] offset1:8
	ds_store_b64 v105, v[18:19] offset:128
	ds_store_2addr_b64 v33, v[10:11], v[50:51] offset1:8
	ds_store_b64 v33, v[78:79] offset:128
	;; [unrolled: 2-line block ×8, first 2 shown]
	global_wb scope:SCOPE_SE
	s_wait_dscnt 0x0
	s_barrier_signal -1
	s_barrier_wait -1
	global_inv scope:SCOPE_SE
	s_clause 0x1
	global_load_b128 v[4:7], v113, s[8:9] offset:176
	global_load_b128 v[0:3], v114, s[8:9] offset:176
	v_mul_lo_u16 v104, 0xab, v45
	v_and_b32_e32 v55, 0xffff, v40
	v_and_b32_e32 v72, 0xffff, v39
	;; [unrolled: 1-line block ×4, first 2 shown]
	v_lshrrev_b16 v50, 12, v104
	v_mul_u32_u24_e32 v8, 0xaaab, v55
	v_mul_u32_u24_e32 v12, 0xaaab, v72
	;; [unrolled: 1-line block ×3, first 2 shown]
	v_mul_lo_u16 v45, v45, 57
	v_mul_lo_u16 v9, v50, 24
	v_lshrrev_b32_e32 v52, 20, v8
	v_lshrrev_b32_e32 v62, 20, v12
	v_add_nc_u32_e32 v79, -9, v58
	v_mov_b32_e32 v33, 0
	v_sub_nc_u16 v13, v59, v9
	v_mul_lo_u16 v15, v52, 24
	v_lshrrev_b32_e32 v74, 20, v14
	v_mul_u32_u24_e32 v76, 0xe38f, v76
	v_lshrrev_b16 v100, 12, v45
	v_and_b32_e32 v53, 0xff, v13
	v_sub_nc_u16 v12, v40, v15
	v_mul_lo_u16 v13, v62, 24
	v_mul_u32_u24_e32 v15, 0xaaab, v78
	s_wait_alu 0xf1ff
	v_cndmask_b32_e64 v42, v79, v42, s0
	v_lshlrev_b64_e32 v[79:80], 3, v[32:33]
	v_mul_lo_u16 v16, v74, 24
	v_and_b32_e32 v54, 0xffff, v12
	v_sub_nc_u16 v12, v39, v13
	v_lshrrev_b32_e32 v77, 20, v15
	v_mul_u32_u24_e32 v72, 0xe38f, v72
	v_lshrrev_b32_e32 v102, 22, v76
	v_and_b32_e32 v45, 0xffff, v47
	v_and_b32_e32 v46, 0xffff, v50
	v_mul_lo_u16 v47, 0x48, v99
	v_mul_lo_u16 v50, 0x48, v100
	v_mul_u32_u24_e32 v76, 0x240, v44
	v_lshlrev_b32_e32 v44, 3, v49
	v_sub_nc_u16 v13, v37, v16
	v_and_b32_e32 v63, 0xffff, v12
	v_mul_lo_u16 v12, v77, 24
	v_mul_u32_u24_e32 v98, 0xe38f, v78
	v_add_co_u32 v96, s0, s8, v79
	v_lshrrev_b32_e32 v101, 22, v72
	v_mul_u32_u24_e32 v72, 0x240, v74
	v_mul_u32_u24_e32 v74, 0x240, v77
	v_sub_nc_u16 v41, v41, v47
	v_mul_u32_u24_e32 v77, 0x240, v45
	v_mul_u32_u24_e32 v78, 0x240, v46
	v_sub_nc_u16 v105, v59, v50
	v_add3_u32 v106, 0, v43, v44
	v_lshlrev_b32_e32 v79, 3, v48
	ds_load_2addr_b64 v[43:46], v36 offset0:120 offset1:183
	ds_load_2addr_b64 v[47:50], v66 offset0:112 offset1:175
	v_lshlrev_b32_e32 v14, 4, v53
	v_and_b32_e32 v73, 0xffff, v13
	v_lshlrev_b32_e32 v13, 4, v63
	v_mul_u32_u24_e32 v62, 0x240, v62
	v_lshlrev_b32_e32 v63, 3, v63
	global_load_b128 v[24:27], v14, s[8:9] offset:176
	v_sub_nc_u16 v12, v38, v12
	global_load_b128 v[20:23], v13, s[8:9] offset:176
	v_lshlrev_b32_e32 v14, 4, v54
	v_add3_u32 v111, 0, v62, v63
	v_mul_u32_u24_e32 v52, 0x240, v52
	v_and_b32_e32 v75, 0xffff, v12
	v_lshlrev_b32_e32 v53, 3, v53
	global_load_b128 v[28:31], v14, s[8:9] offset:176
	v_lshlrev_b32_e32 v14, 4, v73
	v_lshlrev_b32_e32 v54, 3, v54
	;; [unrolled: 1-line block ×4, first 2 shown]
	s_wait_alu 0xf1ff
	v_add_co_ci_u32_e64 v97, s0, s9, v80, s0
	global_load_b128 v[16:19], v14, s[8:9] offset:176
	v_add3_u32 v107, 0, v76, v79
	v_add3_u32 v109, 0, v78, v53
	;; [unrolled: 1-line block ×3, first 2 shown]
	v_lshlrev_b32_e32 v32, 1, v42
	global_load_b128 v[12:15], v12, s[8:9] offset:176
	v_mul_lo_u16 v104, 0x48, v101
	s_wait_loadcnt_dscnt 0x601
	v_dual_mul_f32 v63, v5, v43 :: v_dual_lshlrev_b32 v42, 3, v42
	s_wait_loadcnt_dscnt 0x500
	v_dual_mul_f32 v114, v7, v47 :: v_dual_mul_f32 v115, v1, v46
	v_dual_mul_f32 v116, v1, v45 :: v_dual_mul_f32 v1, v50, v3
	v_mul_f32_e32 v62, v5, v44
	s_delay_alu instid0(VALU_DEP_3) | instskip(NEXT) | instid1(VALU_DEP_3)
	v_fmac_f32_e32 v114, v6, v48
	v_dual_mul_f32 v5, v7, v48 :: v_dual_fmac_f32 v116, v0, v46
	v_mul_f32_e32 v46, v49, v3
	v_fma_f32 v49, v49, v2, -v1
	v_fmac_f32_e32 v63, v4, v44
	v_and_b32_e32 v51, 0xff, v112
	v_fma_f32 v44, v6, v47, -v5
	v_lshlrev_b32_e32 v75, 3, v75
	v_add3_u32 v112, 0, v72, v73
	v_fma_f32 v43, v4, v43, -v62
	v_lshlrev_b32_e32 v10, 4, v51
	v_lshlrev_b32_e32 v51, 3, v51
	v_add3_u32 v113, 0, v74, v75
	v_fmac_f32_e32 v46, v50, v2
	global_load_b128 v[8:11], v10, s[8:9] offset:176
	v_add3_u32 v108, 0, v77, v51
	ds_load_2addr_b64 v[51:54], v70 offset0:118 offset1:181
	ds_load_2addr_b64 v[72:75], v67 offset0:110 offset1:173
	;; [unrolled: 1-line block ×6, first 2 shown]
	ds_load_2addr_b64 v[92:95], v64 offset1:63
	ds_load_2addr_b64 v[4:7], v64 offset0:126 offset1:189
	s_wait_loadcnt_dscnt 0x506
	v_mul_f32_e32 v62, v75, v27
	s_wait_loadcnt 0x0
	v_mul_f32_e32 v48, v51, v9
	v_mul_f32_e32 v47, v52, v9
	;; [unrolled: 1-line block ×3, first 2 shown]
	s_delay_alu instid0(VALU_DEP_3) | instskip(SKIP_4) | instid1(VALU_DEP_4)
	v_fmac_f32_e32 v48, v52, v8
	v_mul_f32_e32 v52, v54, v25
	v_mul_f32_e32 v25, v53, v25
	v_fma_f32 v47, v51, v8, -v47
	v_fmac_f32_e32 v50, v73, v10
	v_fma_f32 v52, v53, v24, -v52
	s_delay_alu instid0(VALU_DEP_4)
	v_fmac_f32_e32 v25, v54, v24
	v_fma_f32 v54, v74, v26, -v62
	s_wait_dscnt 0x4
	v_mul_f32_e32 v62, v83, v23
	v_dual_mul_f32 v24, v74, v27 :: v_dual_mul_f32 v27, v77, v29
	v_mul_f32_e32 v29, v76, v29
	v_and_b32_e32 v41, 0xff, v41
	s_delay_alu instid0(VALU_DEP_4) | instskip(NEXT) | instid1(VALU_DEP_4)
	v_fma_f32 v62, v82, v22, -v62
	v_dual_mul_f32 v9, v73, v11 :: v_dual_fmac_f32 v24, v75, v26
	v_mul_f32_e32 v26, v80, v31
	v_fma_f32 v27, v76, v28, -v27
	v_sub_f32_e32 v76, v63, v114
	s_delay_alu instid0(VALU_DEP_4)
	v_fma_f32 v51, v72, v10, -v9
	v_mul_f32_e32 v53, v81, v31
	v_mul_f32_e32 v72, v82, v23
	v_fmac_f32_e32 v26, v81, v30
	s_wait_dscnt 0x3
	v_mul_f32_e32 v23, v85, v17
	v_add_f32_e32 v81, v47, v51
	s_wait_dscnt 0x2
	v_mul_f32_e32 v74, v90, v15
	v_fmac_f32_e32 v72, v83, v22
	s_wait_dscnt 0x0
	v_add_f32_e32 v22, v4, v47
	v_sub_f32_e32 v47, v47, v51
	v_fma_f32 v4, -0.5, v81, v4
	v_fmac_f32_e32 v29, v77, v28
	v_fma_f32 v28, v80, v30, -v53
	v_dual_mul_f32 v30, v88, v19 :: v_dual_mul_f32 v53, v86, v13
	v_sub_f32_e32 v77, v116, v46
	v_mul_f32_e32 v73, v89, v19
	v_mul_f32_e32 v19, v87, v13
	;; [unrolled: 1-line block ×4, first 2 shown]
	v_fma_f32 v15, v84, v16, -v23
	v_fma_f32 v73, v88, v18, -v73
	ds_load_2addr_b64 v[8:11], v69 offset0:122 offset1:185
	v_fma_f32 v75, v90, v14, -v13
	v_mul_f32_e32 v21, v78, v21
	v_add_f32_e32 v13, v93, v63
	v_fma_f32 v31, v78, v20, -v31
	v_fmac_f32_e32 v53, v87, v12
	v_fmac_f32_e32 v74, v91, v14
	;; [unrolled: 1-line block ×3, first 2 shown]
	v_add_f32_e32 v20, v63, v114
	v_dual_add_f32 v13, v13, v114 :: v_dual_sub_f32 v114, v15, v73
	v_fma_f32 v45, v0, v45, -v115
	ds_load_2addr_b64 v[0:3], v34 offset0:124 offset1:187
	v_fmac_f32_e32 v30, v89, v18
	v_fma_f32 v18, v86, v12, -v19
	v_add_f32_e32 v12, v92, v43
	v_add_f32_e32 v14, v94, v45
	;; [unrolled: 1-line block ×3, first 2 shown]
	v_sub_f32_e32 v122, v53, v74
	v_add_f32_e32 v63, v45, v49
	v_sub_f32_e32 v45, v45, v49
	v_mul_f32_e32 v17, v84, v17
	v_dual_sub_f32 v79, v48, v50 :: v_dual_add_f32 v88, v27, v28
	v_sub_f32_e32 v89, v27, v28
	v_add_f32_e32 v19, v43, v44
	s_delay_alu instid0(VALU_DEP_4)
	v_fmac_f32_e32 v17, v85, v16
	v_add_f32_e32 v16, v95, v116
	v_sub_f32_e32 v117, v31, v62
	v_sub_f32_e32 v43, v43, v44
	v_add_f32_e32 v12, v12, v44
	v_dual_add_f32 v44, v15, v73 :: v_dual_fmac_f32 v95, -0.5, v78
	v_add_f32_e32 v116, v31, v62
	s_wait_dscnt 0x1
	v_add_f32_e32 v120, v8, v15
	v_add_f32_e32 v14, v14, v49
	;; [unrolled: 1-line block ×3, first 2 shown]
	v_fma_f32 v8, -0.5, v44, v8
	v_fmamk_f32 v44, v45, 0xbf5db3d7, v95
	v_fmac_f32_e32 v95, 0x3f5db3d7, v45
	v_fmamk_f32 v45, v79, 0x3f5db3d7, v4
	s_wait_dscnt 0x0
	v_dual_fmac_f32 v4, 0xbf5db3d7, v79 :: v_dual_add_f32 v85, v1, v29
	v_sub_f32_e32 v86, v29, v26
	v_add_f32_e32 v87, v29, v26
	v_add_f32_e32 v29, v0, v27
	v_fma_f32 v0, -0.5, v88, v0
	v_add_f32_e32 v23, v5, v48
	v_add_f32_e32 v115, v2, v31
	v_dual_add_f32 v15, v16, v46 :: v_dual_add_f32 v16, v22, v51
	v_add_f32_e32 v22, v29, v28
	v_add_f32_e32 v28, v49, v75
	v_fma_f32 v2, -0.5, v116, v2
	v_fmamk_f32 v49, v86, 0x3f5db3d7, v0
	v_fmac_f32_e32 v0, 0xbf5db3d7, v86
	v_sub_f32_e32 v90, v21, v72
	v_dual_add_f32 v48, v48, v50 :: v_dual_add_f32 v91, v21, v72
	v_fma_f32 v1, -0.5, v87, v1
	s_delay_alu instid0(VALU_DEP_3)
	v_dual_add_f32 v84, v52, v54 :: v_dual_fmamk_f32 v51, v90, 0x3f5db3d7, v2
	v_dual_fmac_f32 v2, 0xbf5db3d7, v90 :: v_dual_add_f32 v31, v9, v17
	v_sub_f32_e32 v118, v17, v30
	v_add_f32_e32 v119, v17, v30
	v_dual_add_f32 v17, v23, v50 :: v_dual_add_f32 v50, v18, v75
	v_dual_add_f32 v23, v85, v26 :: v_dual_add_f32 v26, v120, v73
	;; [unrolled: 1-line block ×3, first 2 shown]
	s_delay_alu instid0(VALU_DEP_3)
	v_fma_f32 v10, -0.5, v50, v10
	v_sub_f32_e32 v82, v25, v24
	v_dual_add_f32 v25, v6, v52 :: v_dual_sub_f32 v52, v52, v54
	v_dual_add_f32 v27, v3, v21 :: v_dual_add_f32 v46, v53, v74
	v_sub_f32_e32 v123, v18, v75
	v_fmac_f32_e32 v7, -0.5, v83
	v_fmac_f32_e32 v3, -0.5, v91
	v_fmamk_f32 v50, v89, 0xbf5db3d7, v1
	v_fma_f32 v18, -0.5, v19, v92
	v_fma_f32 v19, -0.5, v20, v93
	v_dual_add_f32 v21, v80, v24 :: v_dual_add_f32 v24, v115, v62
	v_fmamk_f32 v62, v122, 0x3f5db3d7, v10
	v_fma_f32 v94, -0.5, v63, v94
	v_fma_f32 v5, -0.5, v48, v5
	v_dual_add_f32 v121, v11, v53 :: v_dual_add_f32 v20, v25, v54
	v_add_f32_e32 v25, v27, v72
	v_add_f32_e32 v27, v31, v30
	v_fma_f32 v6, -0.5, v84, v6
	v_fma_f32 v9, -0.5, v119, v9
	v_dual_fmac_f32 v11, -0.5, v46 :: v_dual_fmamk_f32 v30, v76, 0x3f5db3d7, v18
	v_fmamk_f32 v48, v52, 0xbf5db3d7, v7
	v_fmac_f32_e32 v7, 0x3f5db3d7, v52
	v_fmamk_f32 v52, v117, 0xbf5db3d7, v3
	v_dual_fmamk_f32 v31, v43, 0xbf5db3d7, v19 :: v_dual_fmac_f32 v18, 0xbf5db3d7, v76
	v_fmac_f32_e32 v19, 0x3f5db3d7, v43
	v_lshlrev_b64_e32 v[32:33], 3, v[32:33]
	v_fmamk_f32 v43, v77, 0x3f5db3d7, v94
	v_fmac_f32_e32 v94, 0xbf5db3d7, v77
	v_fmamk_f32 v46, v47, 0xbf5db3d7, v5
	v_fmac_f32_e32 v1, 0x3f5db3d7, v89
	v_mul_u32_u24_e32 v55, 0xe38f, v55
	global_wb scope:SCOPE_SE
	s_barrier_signal -1
	s_barrier_wait -1
	global_inv scope:SCOPE_SE
	v_add_f32_e32 v29, v121, v74
	v_fmac_f32_e32 v5, 0x3f5db3d7, v47
	v_fmamk_f32 v47, v82, 0x3f5db3d7, v6
	v_fmac_f32_e32 v6, 0xbf5db3d7, v82
	v_fmac_f32_e32 v3, 0x3f5db3d7, v117
	v_fmamk_f32 v53, v118, 0x3f5db3d7, v8
	v_fmac_f32_e32 v8, 0xbf5db3d7, v118
	v_fmamk_f32 v54, v114, 0xbf5db3d7, v9
	v_fmac_f32_e32 v9, 0x3f5db3d7, v114
	v_dual_fmac_f32 v10, 0xbf5db3d7, v122 :: v_dual_fmamk_f32 v63, v123, 0xbf5db3d7, v11
	v_fmac_f32_e32 v11, 0x3f5db3d7, v123
	ds_store_2addr_b64 v106, v[12:13], v[30:31] offset1:24
	ds_store_b64 v106, v[18:19] offset:384
	ds_store_2addr_b64 v107, v[14:15], v[43:44] offset1:24
	ds_store_b64 v107, v[94:95] offset:384
	;; [unrolled: 2-line block ×8, first 2 shown]
	v_and_b32_e32 v1, 0xff, v105
	v_mul_lo_u16 v20, 0x48, v102
	v_add_co_u32 v32, s0, s8, v32
	v_lshrrev_b32_e32 v55, 22, v55
	s_wait_alu 0xf1ff
	v_add_co_ci_u32_e64 v33, s0, s9, v33, s0
	v_lshlrev_b32_e32 v2, 4, v41
	v_lshlrev_b32_e32 v16, 4, v1
	v_sub_nc_u16 v24, v37, v20
	v_mul_lo_u16 v103, 0x48, v55
	global_wb scope:SCOPE_SE
	s_wait_dscnt 0x0
	s_barrier_signal -1
	s_barrier_wait -1
	global_inv scope:SCOPE_SE
	s_clause 0x3
	global_load_b128 v[4:7], v[96:97], off offset:560
	global_load_b128 v[8:11], v[32:33], off offset:560
	global_load_b128 v[12:15], v2, s[8:9] offset:560
	global_load_b128 v[16:19], v16, s[8:9] offset:560
	v_and_b32_e32 v32, 0xffff, v24
	v_sub_nc_u16 v0, v40, v103
	v_sub_nc_u16 v2, v39, v104
	v_lshrrev_b32_e32 v3, 22, v98
	v_cmp_lt_u32_e64 s0, 8, v58
	v_lshlrev_b32_e32 v28, 4, v32
	v_and_b32_e32 v0, 0xffff, v0
	v_and_b32_e32 v2, 0xffff, v2
	v_mul_lo_u16 v3, 0x48, v3
	v_mul_u32_u24_e32 v45, 0x6c0, v55
	global_load_b128 v[28:31], v28, s[8:9] offset:560
	v_lshlrev_b32_e32 v21, 4, v0
	v_lshlrev_b32_e32 v25, 4, v2
	v_sub_nc_u16 v3, v38, v3
	v_lshlrev_b32_e32 v41, 3, v41
	v_lshlrev_b32_e32 v1, 3, v1
	s_clause 0x1
	global_load_b128 v[20:23], v21, s[8:9] offset:560
	global_load_b128 v[24:27], v25, s[8:9] offset:560
	v_and_b32_e32 v3, 0xffff, v3
	v_lshlrev_b32_e32 v0, 3, v0
	v_mul_u32_u24_e32 v49, 0x6c0, v101
	v_mul_u32_u24_e32 v50, 0x6c0, v102
	v_lshlrev_b32_e32 v2, 3, v2
	v_lshlrev_b32_e32 v33, 4, v3
	;; [unrolled: 1-line block ×3, first 2 shown]
	v_add3_u32 v63, 0, v45, v0
	ds_load_2addr_b64 v[45:48], v66 offset0:112 offset1:175
	v_lshl_add_u32 v54, v3, 3, 0
	global_load_b128 v[37:40], v33, s[8:9] offset:560
	s_wait_alu 0xf1ff
	v_cndmask_b32_e64 v33, 0, 0x6c0, s0
	v_add3_u32 v101, 0, v50, v32
	v_cmp_gt_u32_e64 s0, 27, v58
	v_add_nc_u32_e32 v102, 0x2800, v54
	s_delay_alu instid0(VALU_DEP_4) | instskip(SKIP_3) | instid1(VALU_DEP_3)
	v_add3_u32 v53, 0, v33, v42
	v_and_b32_e32 v33, 0xffff, v99
	v_and_b32_e32 v42, 0xffff, v100
	v_add3_u32 v100, 0, v49, v2
	v_mul_u32_u24_e32 v33, 0x6c0, v33
	s_delay_alu instid0(VALU_DEP_3) | instskip(NEXT) | instid1(VALU_DEP_2)
	v_mul_u32_u24_e32 v42, 0x6c0, v42
	v_add3_u32 v55, 0, v33, v41
	s_delay_alu instid0(VALU_DEP_2)
	v_add3_u32 v62, 0, v42, v1
	ds_load_2addr_b64 v[41:44], v36 offset0:120 offset1:183
	ds_load_2addr_b64 v[49:52], v64 offset1:63
	ds_load_2addr_b64 v[72:75], v64 offset0:126 offset1:189
	ds_load_2addr_b64 v[76:79], v70 offset0:118 offset1:181
	;; [unrolled: 1-line block ×9, first 2 shown]
	global_wb scope:SCOPE_SE
	s_wait_loadcnt_dscnt 0x0
	s_barrier_signal -1
	s_barrier_wait -1
	global_inv scope:SCOPE_SE
	v_mul_f32_e32 v36, v5, v42
	v_mul_f32_e32 v5, v5, v41
	;; [unrolled: 1-line block ×10, first 2 shown]
	v_fmac_f32_e32 v17, v79, v16
	v_fmac_f32_e32 v19, v83, v18
	;; [unrolled: 1-line block ×3, first 2 shown]
	v_fma_f32 v44, v47, v10, -v105
	v_fmac_f32_e32 v11, v48, v10
	s_delay_alu instid0(VALU_DEP_4)
	v_dual_mul_f32 v10, v92, v29 :: v_dual_sub_f32 v79, v17, v19
	v_fmac_f32_e32 v5, v4, v42
	v_fma_f32 v42, v8, v43, -v104
	v_mul_f32_e32 v43, v93, v29
	v_mul_f32_e32 v29, v97, v31
	;; [unrolled: 1-line block ×3, first 2 shown]
	v_dual_mul_f32 v103, v7, v46 :: v_dual_fmac_f32 v10, v93, v28
	v_fma_f32 v36, v4, v41, -v36
	s_delay_alu instid0(VALU_DEP_3) | instskip(NEXT) | instid1(VALU_DEP_3)
	v_dual_mul_f32 v8, v90, v25 :: v_dual_fmac_f32 v31, v97, v30
	v_fma_f32 v4, v6, v45, -v103
	v_fma_f32 v48, v82, v18, -v109
	v_mul_f32_e32 v106, v77, v13
	s_delay_alu instid0(VALU_DEP_4)
	v_dual_fmac_f32 v8, v91, v24 :: v_dual_sub_f32 v103, v10, v31
	v_mul_f32_e32 v41, v91, v25
	v_mul_f32_e32 v25, v35, v27
	;; [unrolled: 1-line block ×5, first 2 shown]
	v_fma_f32 v18, v90, v24, -v41
	v_fma_f32 v24, v34, v26, -v25
	v_fmac_f32_e32 v27, v35, v26
	v_fma_f32 v26, v96, v30, -v29
	v_mul_f32_e32 v7, v7, v45
	v_sub_f32_e32 v41, v42, v44
	v_mul_f32_e32 v107, v81, v15
	v_mul_f32_e32 v15, v80, v15
	v_add_f32_e32 v93, v18, v24
	v_dual_fmac_f32 v7, v6, v46 :: v_dual_mul_f32 v6, v88, v21
	v_mul_f32_e32 v21, v33, v23
	v_mul_f32_e32 v45, v95, v38
	;; [unrolled: 1-line block ×3, first 2 shown]
	v_fma_f32 v47, v76, v12, -v106
	v_fmac_f32_e32 v13, v77, v12
	v_fma_f32 v12, v80, v14, -v107
	v_fmac_f32_e32 v15, v81, v14
	v_fma_f32 v14, v78, v16, -v108
	v_fma_f32 v16, v88, v20, -v110
	v_fmac_f32_e32 v6, v89, v20
	v_fma_f32 v20, v32, v22, -v21
	v_fma_f32 v21, v92, v28, -v43
	v_add_f32_e32 v92, v86, v18
	v_fma_f32 v86, -0.5, v93, v86
	v_dual_mul_f32 v23, v32, v23 :: v_dual_mul_f32 v38, v94, v38
	v_mul_f32_e32 v40, v98, v40
	v_fma_f32 v28, v98, v39, -v46
	s_delay_alu instid0(VALU_DEP_3)
	v_dual_add_f32 v78, v14, v48 :: v_dual_fmac_f32 v23, v33, v22
	v_fma_f32 v22, v94, v37, -v45
	v_fmac_f32_e32 v38, v95, v37
	v_fmac_f32_e32 v40, v99, v39
	v_add_f32_e32 v34, v51, v42
	v_add_f32_e32 v77, v74, v14
	;; [unrolled: 1-line block ×3, first 2 shown]
	v_fma_f32 v74, -0.5, v78, v74
	v_dual_sub_f32 v89, v6, v23 :: v_dual_add_f32 v90, v85, v6
	v_add_f32_e32 v6, v6, v23
	v_add_f32_e32 v107, v2, v22
	v_sub_f32_e32 v109, v38, v40
	v_fma_f32 v2, -0.5, v108, v2
	v_dual_add_f32 v29, v36, v4 :: v_dual_add_f32 v46, v73, v13
	v_add_f32_e32 v99, v21, v26
	v_dual_add_f32 v104, v1, v10 :: v_dual_add_f32 v105, v10, v31
	v_add_f32_e32 v10, v34, v44
	v_fmamk_f32 v34, v79, 0x3f5db3d7, v74
	v_fmac_f32_e32 v74, 0xbf5db3d7, v79
	v_sub_f32_e32 v30, v5, v7
	v_dual_add_f32 v32, v50, v5 :: v_dual_add_f32 v5, v5, v7
	v_dual_add_f32 v35, v42, v44 :: v_dual_add_f32 v98, v0, v21
	v_dual_sub_f32 v106, v21, v26 :: v_dual_add_f32 v21, v90, v23
	v_fma_f32 v23, -0.5, v6, v85
	v_fmamk_f32 v6, v109, 0x3f5db3d7, v2
	v_add_f32_e32 v39, v9, v11
	v_dual_add_f32 v43, v47, v12 :: v_dual_add_f32 v76, v13, v15
	v_dual_add_f32 v81, v17, v19 :: v_dual_add_f32 v88, v16, v20
	;; [unrolled: 1-line block ×3, first 2 shown]
	v_sub_f32_e32 v33, v36, v4
	v_dual_sub_f32 v45, v13, v15 :: v_dual_sub_f32 v82, v14, v48
	v_add_f32_e32 v110, v3, v38
	v_add_f32_e32 v38, v38, v40
	;; [unrolled: 1-line block ×3, first 2 shown]
	v_fma_f32 v14, -0.5, v29, v49
	v_fma_f32 v15, -0.5, v5, v50
	;; [unrolled: 1-line block ×3, first 2 shown]
	v_dual_sub_f32 v36, v9, v11 :: v_dual_add_f32 v37, v52, v9
	v_add_f32_e32 v95, v87, v8
	v_fma_f32 v51, -0.5, v35, v51
	v_fmac_f32_e32 v52, -0.5, v39
	v_dual_add_f32 v42, v72, v47 :: v_dual_sub_f32 v47, v47, v12
	v_dual_add_f32 v80, v75, v17 :: v_dual_add_f32 v83, v84, v16
	v_sub_f32_e32 v91, v16, v20
	v_dual_sub_f32 v94, v8, v27 :: v_dual_sub_f32 v97, v18, v24
	v_sub_f32_e32 v111, v22, v28
	v_fma_f32 v16, -0.5, v43, v72
	v_fma_f32 v17, -0.5, v76, v73
	v_fmac_f32_e32 v75, -0.5, v81
	v_fma_f32 v22, -0.5, v88, v84
	v_fmac_f32_e32 v87, -0.5, v96
	v_fma_f32 v1, -0.5, v105, v1
	v_add_f32_e32 v8, v25, v4
	v_add_f32_e32 v4, v107, v28
	;; [unrolled: 1-line block ×3, first 2 shown]
	v_dual_fmac_f32 v3, -0.5, v38 :: v_dual_fmamk_f32 v28, v30, 0x3f5db3d7, v14
	v_fmamk_f32 v29, v33, 0xbf5db3d7, v15
	v_dual_fmamk_f32 v40, v103, 0x3f5db3d7, v0 :: v_dual_add_f32 v9, v32, v7
	v_fmac_f32_e32 v14, 0xbf5db3d7, v30
	v_fmac_f32_e32 v15, 0x3f5db3d7, v33
	v_add_f32_e32 v11, v37, v11
	v_add_f32_e32 v25, v95, v27
	v_add_f32_e32 v27, v104, v31
	v_fmamk_f32 v30, v36, 0x3f5db3d7, v51
	v_fmamk_f32 v31, v41, 0xbf5db3d7, v52
	v_fmac_f32_e32 v51, 0xbf5db3d7, v36
	v_fmac_f32_e32 v52, 0x3f5db3d7, v41
	v_add_f32_e32 v12, v42, v12
	v_dual_add_f32 v18, v77, v48 :: v_dual_add_f32 v19, v80, v19
	v_add_f32_e32 v20, v83, v20
	v_add_f32_e32 v24, v92, v24
	;; [unrolled: 1-line block ×3, first 2 shown]
	v_fmamk_f32 v32, v45, 0x3f5db3d7, v16
	v_dual_fmac_f32 v16, 0xbf5db3d7, v45 :: v_dual_fmamk_f32 v33, v47, 0xbf5db3d7, v17
	v_fmac_f32_e32 v17, 0x3f5db3d7, v47
	v_fmamk_f32 v35, v82, 0xbf5db3d7, v75
	v_fmamk_f32 v36, v89, 0x3f5db3d7, v22
	v_dual_fmac_f32 v22, 0xbf5db3d7, v89 :: v_dual_fmamk_f32 v37, v91, 0xbf5db3d7, v23
	v_dual_fmac_f32 v23, 0x3f5db3d7, v91 :: v_dual_fmamk_f32 v38, v94, 0x3f5db3d7, v86
	;; [unrolled: 1-line block ×3, first 2 shown]
	v_fmamk_f32 v41, v106, 0xbf5db3d7, v1
	v_fmac_f32_e32 v75, 0x3f5db3d7, v82
	v_fmac_f32_e32 v87, 0x3f5db3d7, v97
	;; [unrolled: 1-line block ×4, first 2 shown]
	v_dual_fmac_f32 v2, 0xbf5db3d7, v109 :: v_dual_fmamk_f32 v7, v111, 0xbf5db3d7, v3
	v_fmac_f32_e32 v3, 0x3f5db3d7, v111
	ds_store_2addr_b64 v64, v[8:9], v[28:29] offset1:72
	ds_store_b64 v64, v[14:15] offset:1152
	ds_store_2addr_b64 v53, v[10:11], v[30:31] offset1:72
	ds_store_b64 v53, v[51:52] offset:1152
	;; [unrolled: 2-line block ×7, first 2 shown]
	ds_store_2addr_b64 v102, v[4:5], v[6:7] offset0:16 offset1:88
	ds_store_b64 v54, v[2:3] offset:11520
	global_wb scope:SCOPE_SE
	s_wait_dscnt 0x0
	s_barrier_signal -1
	s_barrier_wait -1
	global_inv scope:SCOPE_SE
	ds_load_2addr_b64 v[20:23], v64 offset1:63
	ds_load_2addr_b64 v[16:19], v64 offset0:126 offset1:216
	ds_load_2addr_b64 v[32:35], v69 offset0:176 offset1:239
	;; [unrolled: 1-line block ×9, first 2 shown]
	ds_load_b64 v[62:63], v64 offset:11376
                                        ; implicit-def: $vgpr13
                                        ; implicit-def: $vgpr1
                                        ; implicit-def: $vgpr11
	s_and_saveexec_b32 s1, s0
	s_cbranch_execz .LBB0_21
; %bb.20:
	v_add_nc_u32_e32 v0, 0x1300, v64
	v_add_nc_u32_e32 v2, 0x500, v64
	ds_load_2addr_b64 v[8:11], v0 offset0:13 offset1:229
	ds_load_2addr_b64 v[12:15], v67 offset0:29 offset1:245
	ds_load_b64 v[0:1], v64 offset:11880
	ds_load_2addr_b64 v[4:7], v2 offset0:29 offset1:245
	s_wait_dscnt 0x3
	v_dual_mov_b32 v3, v9 :: v_dual_mov_b32 v2, v8
.LBB0_21:
	s_wait_alu 0xfffe
	s_or_b32 exec_lo, exec_lo, s1
	v_mul_u32_u24_e32 v8, 6, v58
	s_delay_alu instid0(VALU_DEP_1)
	v_lshlrev_b32_e32 v8, 3, v8
	s_clause 0x8
	global_load_b128 v[72:75], v8, s[8:9] offset:1712
	global_load_b128 v[76:79], v8, s[8:9] offset:1728
	;; [unrolled: 1-line block ×9, first 2 shown]
	global_wb scope:SCOPE_SE
	s_wait_loadcnt_dscnt 0x0
	s_barrier_signal -1
	s_barrier_wait -1
	global_inv scope:SCOPE_SE
	v_mul_f32_e32 v9, v73, v18
	v_dual_mul_f32 v109, v79, v37 :: v_dual_mul_f32 v110, v81, v31
	v_dual_mul_f32 v79, v79, v36 :: v_dual_mul_f32 v112, v85, v53
	;; [unrolled: 1-line block ×5, first 2 shown]
	v_mul_f32_e32 v111, v83, v49
	v_dual_mul_f32 v83, v83, v48 :: v_dual_mul_f32 v114, v45, v89
	v_mul_f32_e32 v85, v85, v52
	v_dual_mul_f32 v113, v87, v35 :: v_dual_mul_f32 v116, v41, v93
	v_mul_f32_e32 v87, v87, v34
	v_fmac_f32_e32 v79, v78, v37
	v_mul_f32_e32 v37, v42, v105
	v_mul_f32_e32 v81, v81, v30
	v_fma_f32 v8, v72, v18, -v8
	v_fma_f32 v18, v74, v32, -v73
	v_mul_f32_e32 v32, v46, v101
	v_mul_f32_e32 v89, v44, v89
	v_fma_f32 v34, v86, v34, -v113
	v_fma_f32 v44, v44, v88, -v114
	v_fmac_f32_e32 v77, v76, v27
	v_fma_f32 v27, v78, v36, -v109
	v_mul_f32_e32 v36, v43, v105
	v_fmac_f32_e32 v85, v84, v53
	v_fmac_f32_e32 v75, v74, v33
	v_dual_mul_f32 v74, v62, v107 :: v_dual_fmac_f32 v37, v43, v104
	v_fmac_f32_e32 v87, v86, v35
	v_fma_f32 v35, v84, v52, -v112
	v_fmac_f32_e32 v9, v72, v19
	v_mul_f32_e32 v72, v28, v103
	v_mul_f32_e32 v115, v39, v91
	v_dual_mul_f32 v91, v38, v91 :: v_dual_fmac_f32 v74, v63, v106
	v_fma_f32 v26, v76, v26, -v108
	v_fma_f32 v30, v80, v30, -v110
	v_mul_f32_e32 v117, v51, v95
	s_delay_alu instid0(VALU_DEP_4)
	v_fmac_f32_e32 v91, v39, v90
	v_fma_f32 v39, v40, v92, -v116
	v_fmac_f32_e32 v32, v47, v100
	v_fmac_f32_e32 v89, v45, v88
	;; [unrolled: 1-line block ×3, first 2 shown]
	v_mul_f32_e32 v119, v25, v99
	v_mul_f32_e32 v99, v24, v99
	v_fma_f32 v31, v82, v48, -v111
	v_fmac_f32_e32 v72, v29, v102
	v_fma_f32 v38, v38, v90, -v115
	v_mul_f32_e32 v33, v29, v103
	v_mul_f32_e32 v97, v54, v97
	v_dual_mul_f32 v19, v47, v101 :: v_dual_add_f32 v48, v34, v39
	v_fmac_f32_e32 v83, v82, v49
	v_mul_f32_e32 v93, v40, v93
	v_dual_add_f32 v43, v26, v27 :: v_dual_sub_f32 v26, v27, v26
	v_fmac_f32_e32 v99, v25, v98
	v_fma_f32 v25, v28, v102, -v33
	v_add_f32_e32 v33, v8, v31
	v_dual_sub_f32 v8, v8, v31 :: v_dual_add_f32 v31, v18, v30
	v_sub_f32_e32 v18, v18, v30
	v_fma_f32 v40, v50, v94, -v117
	v_mul_f32_e32 v95, v50, v95
	v_fma_f32 v19, v46, v100, -v19
	v_fma_f32 v28, v42, v104, -v36
	v_sub_f32_e32 v76, v26, v18
	v_add_f32_e32 v46, v35, v40
	v_add_f32_e32 v36, v9, v83
	v_fmac_f32_e32 v93, v41, v92
	v_fma_f32 v41, v54, v96, -v118
	v_dual_mul_f32 v73, v63, v107 :: v_dual_add_f32 v50, v44, v38
	v_sub_f32_e32 v38, v38, v44
	v_sub_f32_e32 v44, v91, v89
	v_add_f32_e32 v42, v75, v81
	v_fmac_f32_e32 v95, v51, v94
	v_fmac_f32_e32 v97, v55, v96
	v_fma_f32 v29, v62, v106, -v73
	v_dual_sub_f32 v34, v34, v39 :: v_dual_sub_f32 v35, v35, v40
	v_dual_add_f32 v62, v32, v72 :: v_dual_sub_f32 v9, v9, v83
	s_delay_alu instid0(VALU_DEP_3)
	v_add_f32_e32 v52, v41, v29
	v_add_f32_e32 v53, v97, v74
	v_sub_f32_e32 v29, v41, v29
	v_sub_f32_e32 v41, v97, v74
	v_add_f32_e32 v74, v26, v18
	v_sub_f32_e32 v18, v18, v8
	v_sub_f32_e32 v40, v85, v95
	;; [unrolled: 1-line block ×3, first 2 shown]
	v_fma_f32 v24, v24, v98, -v119
	v_dual_add_f32 v47, v85, v95 :: v_dual_sub_f32 v26, v8, v26
	v_add_f32_e32 v78, v48, v46
	v_sub_f32_e32 v80, v48, v46
	v_sub_f32_e32 v48, v50, v48
	v_dual_add_f32 v54, v24, v28 :: v_dual_sub_f32 v27, v79, v77
	v_dual_sub_f32 v46, v46, v50 :: v_dual_add_f32 v45, v77, v79
	v_sub_f32_e32 v24, v24, v28
	s_delay_alu instid0(VALU_DEP_3)
	v_dual_sub_f32 v88, v54, v52 :: v_dual_add_f32 v75, v27, v30
	v_dual_sub_f32 v77, v27, v30 :: v_dual_sub_f32 v30, v30, v9
	v_add_f32_e32 v55, v99, v37
	v_sub_f32_e32 v28, v99, v37
	v_add_f32_e32 v37, v19, v25
	v_sub_f32_e32 v19, v25, v19
	v_dual_sub_f32 v25, v72, v32 :: v_dual_sub_f32 v72, v31, v33
	v_sub_f32_e32 v39, v87, v93
	v_dual_add_f32 v49, v87, v93 :: v_dual_sub_f32 v84, v38, v34
	v_sub_f32_e32 v73, v42, v36
	v_dual_sub_f32 v27, v9, v27 :: v_dual_sub_f32 v92, v19, v24
	v_add_f32_e32 v82, v38, v34
	v_sub_f32_e32 v34, v34, v35
	v_add_f32_e32 v83, v44, v39
	v_sub_f32_e32 v85, v44, v39
	v_sub_f32_e32 v44, v40, v44
	v_dual_add_f32 v32, v31, v33 :: v_dual_sub_f32 v33, v33, v43
	v_add_f32_e32 v90, v19, v24
	v_add_f32_e32 v86, v54, v52
	v_sub_f32_e32 v24, v24, v29
	v_sub_f32_e32 v94, v29, v19
	v_dual_sub_f32 v52, v52, v37 :: v_dual_add_f32 v63, v42, v36
	v_dual_sub_f32 v36, v36, v45 :: v_dual_add_f32 v51, v89, v91
	v_sub_f32_e32 v38, v35, v38
	v_dual_sub_f32 v54, v37, v54 :: v_dual_add_f32 v87, v55, v53
	v_sub_f32_e32 v89, v55, v53
	v_sub_f32_e32 v53, v53, v62
	;; [unrolled: 1-line block ×3, first 2 shown]
	v_dual_add_f32 v79, v49, v47 :: v_dual_add_f32 v32, v43, v32
	v_sub_f32_e32 v55, v62, v55
	v_dual_add_f32 v29, v90, v29 :: v_dual_mul_f32 v90, 0xbf08b237, v92
	v_mul_f32_e32 v92, 0x3f5ff5aa, v24
	v_mul_f32_e32 v53, 0x3f4a47b2, v53
	v_dual_add_f32 v35, v82, v35 :: v_dual_mul_f32 v82, 0xbf08b237, v84
	v_sub_f32_e32 v31, v43, v31
	v_dual_sub_f32 v81, v49, v47 :: v_dual_add_f32 v50, v50, v78
	v_dual_sub_f32 v47, v47, v51 :: v_dual_mul_f32 v46, 0x3f4a47b2, v46
	v_mul_f32_e32 v19, 0x3f4a47b2, v33
	v_dual_mul_f32 v78, 0x3d64c772, v48 :: v_dual_add_f32 v37, v37, v86
	v_mul_f32_e32 v33, 0x3f4a47b2, v36
	v_dual_mul_f32 v36, 0x3d64c772, v31 :: v_dual_add_f32 v91, v25, v28
	v_dual_sub_f32 v93, v25, v28 :: v_dual_sub_f32 v28, v28, v41
	v_dual_add_f32 v43, v45, v63 :: v_dual_mul_f32 v52, 0x3f4a47b2, v52
	v_add_f32_e32 v63, v75, v9
	v_mul_f32_e32 v75, 0xbf08b237, v76
	v_dual_mul_f32 v86, 0x3d64c772, v54 :: v_dual_sub_f32 v39, v39, v40
	v_add_f32_e32 v62, v62, v87
	v_dual_add_f32 v40, v83, v40 :: v_dual_mul_f32 v83, 0xbf08b237, v85
	v_dual_add_f32 v45, v74, v8 :: v_dual_mul_f32 v74, 0x3d64c772, v42
	v_dual_sub_f32 v49, v51, v49 :: v_dual_mul_f32 v84, 0x3f5ff5aa, v34
	v_sub_f32_e32 v25, v41, v25
	v_mul_f32_e32 v76, 0xbf08b237, v77
	v_add_f32_e32 v8, v20, v32
	v_fmamk_f32 v20, v31, 0x3d64c772, v19
	v_fma_f32 v31, 0x3f3bfb3b, v72, -v36
	v_fma_f32 v36, 0x3f3bfb3b, v73, -v74
	v_mul_f32_e32 v77, 0x3f5ff5aa, v18
	v_fma_f32 v74, 0x3f5ff5aa, v18, -v75
	v_dual_add_f32 v18, v22, v50 :: v_dual_add_f32 v41, v91, v41
	v_dual_fmamk_f32 v22, v48, 0x3d64c772, v46 :: v_dual_add_f32 v9, v21, v43
	v_dual_add_f32 v16, v16, v37 :: v_dual_fmamk_f32 v21, v42, 0x3d64c772, v33
	v_fma_f32 v42, 0xbf3bfb3b, v72, -v19
	v_fmamk_f32 v72, v26, 0x3eae86e6, v75
	v_mul_f32_e32 v91, 0xbf08b237, v93
	v_mul_f32_e32 v93, 0x3f5ff5aa, v28
	v_add_f32_e32 v51, v51, v79
	v_fma_f32 v48, 0x3f3bfb3b, v80, -v78
	v_fma_f32 v46, 0xbf3bfb3b, v80, -v46
	v_dual_fmamk_f32 v80, v25, 0x3eae86e6, v91 :: v_dual_fmamk_f32 v75, v38, 0x3eae86e6, v82
	v_fma_f32 v38, 0xbeae86e6, v38, -v84
	v_fma_f32 v84, 0xbeae86e6, v25, -v93
	v_fmamk_f32 v25, v43, 0xbf955555, v9
	v_mul_f32_e32 v79, 0x3d64c772, v49
	v_add_f32_e32 v19, v23, v51
	v_fma_f32 v33, 0xbf3bfb3b, v73, -v33
	s_delay_alu instid0(VALU_DEP_4)
	v_add_f32_e32 v36, v36, v25
	v_fma_f32 v26, 0xbeae86e6, v26, -v77
	v_fma_f32 v77, 0x3f5ff5aa, v34, -v82
	v_fma_f32 v34, 0x3f5ff5aa, v39, -v83
	v_fma_f32 v82, 0x3f5ff5aa, v28, -v91
	v_fmamk_f32 v28, v50, 0xbf955555, v18
	v_mul_f32_e32 v47, 0x3f4a47b2, v47
	v_fmac_f32_e32 v84, 0x3ee1c552, v41
	v_fmac_f32_e32 v34, 0x3ee1c552, v40
	s_delay_alu instid0(VALU_DEP_4) | instskip(NEXT) | instid1(VALU_DEP_4)
	v_add_f32_e32 v43, v48, v28
	v_dual_add_f32 v46, v46, v28 :: v_dual_fmamk_f32 v23, v49, 0x3d64c772, v47
	v_fma_f32 v49, 0x3f3bfb3b, v81, -v79
	v_fma_f32 v47, 0xbf3bfb3b, v81, -v47
	v_fmamk_f32 v79, v94, 0x3eae86e6, v90
	v_fma_f32 v81, 0x3f5ff5aa, v24, -v90
	v_fmamk_f32 v24, v32, 0xbf955555, v8
	v_fmamk_f32 v32, v51, 0xbf955555, v19
	v_mul_f32_e32 v95, 0x3f5ff5aa, v30
	v_fma_f32 v30, 0x3f5ff5aa, v30, -v76
	v_fmac_f32_e32 v80, 0x3ee1c552, v41
	v_dual_fmac_f32 v82, 0x3ee1c552, v41 :: v_dual_add_f32 v31, v31, v24
	v_add_f32_e32 v41, v22, v28
	v_dual_fmamk_f32 v73, v27, 0x3eae86e6, v76 :: v_dual_fmamk_f32 v76, v44, 0x3eae86e6, v83
	v_fma_f32 v83, 0xbeae86e6, v94, -v92
	v_fmac_f32_e32 v79, 0x3ee1c552, v29
	v_fmac_f32_e32 v81, 0x3ee1c552, v29
	v_dual_add_f32 v17, v17, v62 :: v_dual_fmac_f32 v26, 0x3ee1c552, v45
	s_delay_alu instid0(VALU_DEP_4)
	v_fmac_f32_e32 v83, 0x3ee1c552, v29
	v_add_f32_e32 v29, v20, v24
	v_dual_mul_f32 v85, 0x3f5ff5aa, v39 :: v_dual_add_f32 v24, v42, v24
	v_fmac_f32_e32 v76, 0x3ee1c552, v40
	v_fmac_f32_e32 v72, 0x3ee1c552, v45
	;; [unrolled: 1-line block ×3, first 2 shown]
	s_delay_alu instid0(VALU_DEP_4) | instskip(SKIP_3) | instid1(VALU_DEP_4)
	v_fma_f32 v39, 0xbeae86e6, v44, -v85
	v_fmamk_f32 v44, v54, 0x3d64c772, v52
	v_fmamk_f32 v54, v55, 0x3d64c772, v53
	v_fmac_f32_e32 v30, 0x3ee1c552, v63
	v_dual_fmac_f32 v38, 0x3ee1c552, v35 :: v_dual_fmac_f32 v39, 0x3ee1c552, v40
	ds_store_2addr_b64 v64, v[8:9], v[18:19] offset1:63
	v_dual_add_f32 v45, v49, v32 :: v_dual_sub_f32 v20, v31, v30
	v_add_f32_e32 v22, v30, v31
	v_add_f32_e32 v30, v39, v46
	;; [unrolled: 1-line block ×3, first 2 shown]
	v_fma_f32 v27, 0xbeae86e6, v27, -v95
	v_dual_add_f32 v47, v47, v32 :: v_dual_add_f32 v28, v76, v41
	v_dual_fmac_f32 v73, 0x3ee1c552, v63 :: v_dual_sub_f32 v32, v43, v34
	s_delay_alu instid0(VALU_DEP_3) | instskip(SKIP_3) | instid1(VALU_DEP_4)
	v_fmac_f32_e32 v27, 0x3ee1c552, v63
	v_mul_f32_e32 v87, 0x3d64c772, v55
	v_add_f32_e32 v34, v34, v43
	v_fma_f32 v55, 0x3f3bfb3b, v88, -v86
	v_dual_fmac_f32 v77, 0x3ee1c552, v35 :: v_dual_add_f32 v18, v27, v24
	v_sub_f32_e32 v24, v24, v27
	v_add_f32_e32 v40, v21, v25
	v_add_f32_e32 v25, v33, v25
	v_fma_f32 v52, 0xbf3bfb3b, v88, -v52
	v_fma_f32 v78, 0x3f3bfb3b, v89, -v87
	v_sub_f32_e32 v31, v47, v38
	v_sub_f32_e32 v9, v40, v72
	;; [unrolled: 1-line block ×3, first 2 shown]
	v_add_f32_e32 v25, v26, v25
	v_dual_sub_f32 v26, v29, v73 :: v_dual_fmac_f32 v75, 0x3ee1c552, v35
	v_fmamk_f32 v35, v37, 0xbf955555, v16
	v_add_f32_e32 v21, v74, v36
	v_sub_f32_e32 v23, v36, v74
	v_dual_add_f32 v27, v72, v40 :: v_dual_sub_f32 v36, v46, v39
	s_delay_alu instid0(VALU_DEP_4) | instskip(SKIP_3) | instid1(VALU_DEP_4)
	v_dual_add_f32 v48, v55, v35 :: v_dual_fmamk_f32 v37, v62, 0xbf955555, v17
	v_add_f32_e32 v52, v52, v35
	v_fma_f32 v53, 0xbf3bfb3b, v89, -v53
	v_add_f32_e32 v50, v44, v35
	v_dual_sub_f32 v44, v48, v82 :: v_dual_add_f32 v51, v54, v37
	v_add_f32_e32 v49, v78, v37
	s_delay_alu instid0(VALU_DEP_4)
	v_add_f32_e32 v53, v53, v37
	v_dual_add_f32 v37, v38, v47 :: v_dual_sub_f32 v38, v41, v76
	v_add_f32_e32 v8, v73, v29
	v_add_f32_e32 v40, v80, v50
	v_sub_f32_e32 v50, v50, v80
	v_sub_f32_e32 v29, v42, v75
	v_dual_add_f32 v39, v75, v42 :: v_dual_add_f32 v42, v84, v52
	v_sub_f32_e32 v35, v45, v77
	v_sub_f32_e32 v41, v51, v79
	v_add_f32_e32 v33, v77, v45
	v_dual_add_f32 v45, v81, v49 :: v_dual_add_f32 v46, v82, v48
	v_sub_f32_e32 v43, v53, v83
	v_dual_sub_f32 v47, v49, v81 :: v_dual_sub_f32 v48, v52, v84
	v_add_f32_e32 v49, v83, v53
	v_add_f32_e32 v51, v79, v51
	ds_store_2addr_b64 v69, v[18:19], v[30:31] offset0:176 offset1:239
	ds_store_2addr_b64 v68, v[22:23], v[34:35] offset0:96 offset1:159
	;; [unrolled: 1-line block ×9, first 2 shown]
	ds_store_b64 v64, v[50:51] offset:11376
	s_and_saveexec_b32 s1, s0
	s_cbranch_execz .LBB0_23
; %bb.22:
	v_subrev_nc_u32_e32 v8, 27, v58
	v_dual_mov_b32 v9, 0 :: v_dual_add_nc_u32 v28, 0x500, v64
	s_delay_alu instid0(VALU_DEP_2) | instskip(NEXT) | instid1(VALU_DEP_1)
	v_cndmask_b32_e64 v8, v8, v59, s0
	v_mul_i32_i24_e32 v8, 6, v8
	s_delay_alu instid0(VALU_DEP_1) | instskip(NEXT) | instid1(VALU_DEP_1)
	v_lshlrev_b64_e32 v[8:9], 3, v[8:9]
	v_add_co_u32 v8, s0, s8, v8
	s_wait_alu 0xf1ff
	s_delay_alu instid0(VALU_DEP_2)
	v_add_co_ci_u32_e64 v9, s0, s9, v9, s0
	s_clause 0x2
	global_load_b128 v[16:19], v[8:9], off offset:1712
	global_load_b128 v[20:23], v[8:9], off offset:1744
	;; [unrolled: 1-line block ×3, first 2 shown]
	v_add_nc_u32_e32 v30, 0x2000, v64
	s_wait_loadcnt 0x2
	v_dual_mul_f32 v8, v7, v17 :: v_dual_add_nc_u32 v29, 0x1300, v64
	s_wait_loadcnt 0x1
	v_mul_f32_e32 v9, v1, v23
	s_wait_loadcnt 0x0
	v_dual_mul_f32 v31, v13, v27 :: v_dual_mul_f32 v32, v11, v25
	v_dual_mul_f32 v34, v15, v21 :: v_dual_mul_f32 v23, v0, v23
	s_delay_alu instid0(VALU_DEP_3) | instskip(NEXT) | instid1(VALU_DEP_3)
	v_fma_f32 v0, v0, v22, -v9
	v_fma_f32 v9, v10, v24, -v32
	v_mul_f32_e32 v25, v10, v25
	s_delay_alu instid0(VALU_DEP_4) | instskip(SKIP_2) | instid1(VALU_DEP_4)
	v_fma_f32 v10, v14, v20, -v34
	v_mul_f32_e32 v27, v12, v27
	v_fmac_f32_e32 v23, v1, v22
	v_fmac_f32_e32 v25, v11, v24
	s_delay_alu instid0(VALU_DEP_3) | instskip(SKIP_4) | instid1(VALU_DEP_3)
	v_fmac_f32_e32 v27, v13, v26
	v_mul_f32_e32 v17, v6, v17
	v_fma_f32 v6, v6, v16, -v8
	v_mul_f32_e32 v33, v3, v19
	v_fma_f32 v8, v12, v26, -v31
	v_dual_add_f32 v12, v25, v27 :: v_dual_sub_f32 v1, v6, v0
	v_fmac_f32_e32 v17, v7, v16
	v_add_f32_e32 v0, v6, v0
	s_delay_alu instid0(VALU_DEP_4) | instskip(NEXT) | instid1(VALU_DEP_3)
	v_dual_mul_f32 v21, v14, v21 :: v_dual_add_f32 v6, v9, v8
	v_add_f32_e32 v11, v17, v23
	v_mul_f32_e32 v19, v2, v19
	v_fma_f32 v2, v2, v18, -v33
	s_delay_alu instid0(VALU_DEP_1) | instskip(SKIP_1) | instid1(VALU_DEP_4)
	v_dual_sub_f32 v16, v11, v12 :: v_dual_sub_f32 v7, v2, v10
	v_add_f32_e32 v2, v2, v10
	v_fmac_f32_e32 v19, v3, v18
	v_sub_f32_e32 v3, v8, v9
	s_delay_alu instid0(VALU_DEP_1) | instskip(SKIP_1) | instid1(VALU_DEP_1)
	v_sub_f32_e32 v14, v1, v3
	v_dual_sub_f32 v8, v17, v23 :: v_dual_fmac_f32 v21, v15, v20
	v_dual_sub_f32 v20, v6, v2 :: v_dual_add_f32 v13, v19, v21
	v_dual_sub_f32 v10, v19, v21 :: v_dual_sub_f32 v19, v0, v6
	v_add_f32_e32 v21, v2, v0
	v_sub_f32_e32 v2, v2, v0
	s_delay_alu instid0(VALU_DEP_4) | instskip(NEXT) | instid1(VALU_DEP_3)
	v_dual_add_f32 v18, v13, v11 :: v_dual_sub_f32 v9, v27, v25
	v_add_f32_e32 v6, v6, v21
	s_delay_alu instid0(VALU_DEP_2) | instskip(SKIP_1) | instid1(VALU_DEP_3)
	v_dual_sub_f32 v22, v8, v9 :: v_dual_sub_f32 v23, v9, v10
	v_dual_add_f32 v9, v9, v10 :: v_dual_sub_f32 v10, v10, v8
	v_add_f32_e32 v0, v4, v6
	s_delay_alu instid0(VALU_DEP_2)
	v_dual_add_f32 v8, v9, v8 :: v_dual_sub_f32 v17, v12, v13
	v_add_f32_e32 v12, v12, v18
	v_mul_f32_e32 v18, 0x3f4a47b2, v19
	v_sub_f32_e32 v15, v3, v7
	v_dual_add_f32 v3, v3, v7 :: v_dual_fmamk_f32 v6, v6, 0xbf955555, v0
	v_sub_f32_e32 v11, v13, v11
	v_mul_f32_e32 v21, 0xbf08b237, v23
	s_delay_alu instid0(VALU_DEP_4) | instskip(SKIP_2) | instid1(VALU_DEP_3)
	v_mul_f32_e32 v13, 0xbf08b237, v15
	v_mul_f32_e32 v15, 0x3f4a47b2, v16
	;; [unrolled: 1-line block ×3, first 2 shown]
	v_dual_add_f32 v3, v3, v1 :: v_dual_fmamk_f32 v24, v14, 0x3eae86e6, v13
	s_delay_alu instid0(VALU_DEP_3) | instskip(NEXT) | instid1(VALU_DEP_3)
	v_fma_f32 v4, 0xbf3bfb3b, v11, -v15
	v_fma_f32 v11, 0x3f3bfb3b, v11, -v16
	;; [unrolled: 1-line block ×3, first 2 shown]
	s_delay_alu instid0(VALU_DEP_1) | instskip(NEXT) | instid1(VALU_DEP_1)
	v_dual_sub_f32 v7, v7, v1 :: v_dual_fmac_f32 v16, 0x3ee1c552, v8
	v_mul_f32_e32 v9, 0x3f5ff5aa, v7
	v_add_f32_e32 v1, v5, v12
	v_fmamk_f32 v5, v20, 0x3d64c772, v18
	s_delay_alu instid0(VALU_DEP_3) | instskip(SKIP_1) | instid1(VALU_DEP_1)
	v_fma_f32 v14, 0xbeae86e6, v14, -v9
	v_fma_f32 v9, 0xbf3bfb3b, v2, -v18
	v_add_f32_e32 v18, v9, v6
	v_mul_f32_e32 v23, 0x3f5ff5aa, v10
	v_fma_f32 v13, 0x3f5ff5aa, v7, -v13
	v_fmamk_f32 v7, v12, 0xbf955555, v1
	v_mul_f32_e32 v19, 0x3d64c772, v20
	v_fmamk_f32 v20, v22, 0x3eae86e6, v21
	s_delay_alu instid0(VALU_DEP_3) | instskip(SKIP_1) | instid1(VALU_DEP_3)
	v_dual_add_f32 v12, v4, v7 :: v_dual_fmamk_f32 v17, v17, 0x3d64c772, v15
	v_fma_f32 v15, 0xbeae86e6, v22, -v23
	v_fmac_f32_e32 v20, 0x3ee1c552, v8
	s_delay_alu instid0(VALU_DEP_2)
	v_dual_add_f32 v10, v17, v7 :: v_dual_fmac_f32 v15, 0x3ee1c552, v8
	v_add_f32_e32 v8, v11, v7
	v_fma_f32 v2, 0x3f3bfb3b, v2, -v19
	v_fmac_f32_e32 v24, 0x3ee1c552, v3
	v_fmac_f32_e32 v14, 0x3ee1c552, v3
	;; [unrolled: 1-line block ×3, first 2 shown]
	v_add_f32_e32 v17, v5, v6
	v_add_f32_e32 v2, v2, v6
	;; [unrolled: 1-line block ×4, first 2 shown]
	v_sub_f32_e32 v7, v8, v13
	v_add_f32_e32 v9, v13, v8
	v_sub_f32_e32 v11, v12, v14
	v_dual_sub_f32 v13, v10, v24 :: v_dual_add_f32 v10, v15, v18
	v_add_f32_e32 v12, v20, v17
	v_sub_f32_e32 v8, v2, v16
	v_sub_f32_e32 v4, v18, v15
	v_add_f32_e32 v6, v16, v2
	v_sub_f32_e32 v2, v17, v20
	ds_store_2addr_b64 v28, v[0:1], v[12:13] offset0:29 offset1:245
	ds_store_2addr_b64 v29, v[10:11], v[8:9] offset0:13 offset1:229
	;; [unrolled: 1-line block ×3, first 2 shown]
	ds_store_b64 v64, v[2:3] offset:11880
.LBB0_23:
	s_wait_alu 0xfffe
	s_or_b32 exec_lo, exec_lo, s1
	global_wb scope:SCOPE_SE
	s_wait_dscnt 0x0
	s_barrier_signal -1
	s_barrier_wait -1
	global_inv scope:SCOPE_SE
	s_and_saveexec_b32 s0, vcc_lo
	s_cbranch_execz .LBB0_25
; %bb.24:
	v_mul_lo_u32 v0, s3, v60
	v_mul_lo_u32 v1, s2, v61
	v_mad_co_u64_u32 v[4:5], null, s2, v60, 0
	v_dual_mov_b32 v59, 0 :: v_dual_add_nc_u32 v10, 63, v58
	v_lshl_add_u32 v28, v58, 3, 0
	v_lshlrev_b64_e32 v[8:9], 3, v[56:57]
	s_delay_alu instid0(VALU_DEP_3)
	v_dual_mov_b32 v11, v59 :: v_dual_add_nc_u32 v12, 0x7e, v58
	v_add3_u32 v5, v5, v1, v0
	ds_load_2addr_b64 v[0:3], v28 offset1:63
	v_lshlrev_b64_e32 v[16:17], 3, v[58:59]
	v_mov_b32_e32 v13, v59
	v_lshlrev_b64_e32 v[10:11], 3, v[10:11]
	v_lshlrev_b64_e32 v[14:15], 3, v[4:5]
	ds_load_2addr_b64 v[4:7], v28 offset0:126 offset1:189
	v_add_nc_u32_e32 v20, 0x1c00, v28
	v_add_nc_u32_e32 v26, 0x56a, v58
	v_dual_mov_b32 v19, v59 :: v_dual_add_nc_u32 v18, 0x400, v28
	v_add_co_u32 v14, vcc_lo, s6, v14
	s_wait_alu 0xfffd
	v_add_co_ci_u32_e32 v15, vcc_lo, s7, v15, vcc_lo
	v_mov_b32_e32 v27, v59
	s_delay_alu instid0(VALU_DEP_3)
	v_add_co_u32 v32, vcc_lo, v14, v8
	v_add_nc_u32_e32 v14, 0xbd, v58
	s_wait_alu 0xfffd
	v_add_co_ci_u32_e32 v33, vcc_lo, v15, v9, vcc_lo
	v_mov_b32_e32 v15, v59
	v_lshlrev_b64_e32 v[8:9], 3, v[12:13]
	v_add_co_u32 v12, vcc_lo, v32, v16
	v_add_nc_u32_e32 v16, 0xfc, v58
	s_wait_alu 0xfffd
	v_add_co_ci_u32_e32 v13, vcc_lo, v33, v17, vcc_lo
	v_add_co_u32 v10, vcc_lo, v32, v10
	v_lshlrev_b64_e32 v[14:15], 3, v[14:15]
	s_wait_alu 0xfffd
	v_add_co_ci_u32_e32 v11, vcc_lo, v33, v11, vcc_lo
	v_add_co_u32 v8, vcc_lo, v32, v8
	s_wait_alu 0xfffd
	v_add_co_ci_u32_e32 v9, vcc_lo, v33, v9, vcc_lo
	v_mov_b32_e32 v17, v59
	v_add_co_u32 v14, vcc_lo, v32, v14
	s_wait_alu 0xfffd
	v_add_co_ci_u32_e32 v15, vcc_lo, v33, v15, vcc_lo
	s_wait_dscnt 0x1
	s_clause 0x1
	global_store_b64 v[12:13], v[0:1], off
	global_store_b64 v[10:11], v[2:3], off
	s_wait_dscnt 0x0
	s_clause 0x1
	global_store_b64 v[8:9], v[4:5], off
	global_store_b64 v[14:15], v[6:7], off
	v_lshlrev_b64_e32 v[4:5], 3, v[16:17]
	v_dual_mov_b32 v7, v59 :: v_dual_add_nc_u32 v6, 0x13b, v58
	v_dual_mov_b32 v15, v59 :: v_dual_add_nc_u32 v14, 0x800, v28
	ds_load_2addr_b64 v[0:3], v18 offset0:124 offset1:187
	v_add_co_u32 v10, vcc_lo, v32, v4
	v_dual_mov_b32 v9, v59 :: v_dual_add_nc_u32 v8, 0x17a, v58
	s_wait_alu 0xfffd
	v_add_co_ci_u32_e32 v11, vcc_lo, v33, v5, vcc_lo
	v_lshlrev_b64_e32 v[12:13], 3, v[6:7]
	ds_load_2addr_b64 v[4:7], v14 offset0:122 offset1:185
	v_add_nc_u32_e32 v14, 0x1b9, v58
	v_lshlrev_b64_e32 v[8:9], 3, v[8:9]
	v_add_nc_u32_e32 v16, 0x1f8, v58
	v_add_nc_u32_e32 v18, 0xc00, v28
	v_add_co_u32 v12, vcc_lo, v32, v12
	v_lshlrev_b64_e32 v[14:15], 3, v[14:15]
	s_wait_alu 0xfffd
	v_add_co_ci_u32_e32 v13, vcc_lo, v33, v13, vcc_lo
	v_add_co_u32 v8, vcc_lo, v32, v8
	s_wait_alu 0xfffd
	v_add_co_ci_u32_e32 v9, vcc_lo, v33, v9, vcc_lo
	v_add_co_u32 v14, vcc_lo, v32, v14
	s_wait_alu 0xfffd
	v_add_co_ci_u32_e32 v15, vcc_lo, v33, v15, vcc_lo
	s_wait_dscnt 0x1
	s_clause 0x1
	global_store_b64 v[10:11], v[0:1], off
	global_store_b64 v[12:13], v[2:3], off
	s_wait_dscnt 0x0
	s_clause 0x1
	global_store_b64 v[8:9], v[4:5], off
	global_store_b64 v[14:15], v[6:7], off
	v_mov_b32_e32 v15, v59
	v_mov_b32_e32 v9, v59
	v_lshlrev_b64_e32 v[4:5], 3, v[16:17]
	v_dual_mov_b32 v7, v59 :: v_dual_add_nc_u32 v6, 0x237, v58
	v_add_nc_u32_e32 v14, 0x1000, v28
	ds_load_2addr_b64 v[0:3], v18 offset0:120 offset1:183
	v_add_nc_u32_e32 v8, 0x276, v58
	v_add_co_u32 v10, vcc_lo, v32, v4
	s_wait_alu 0xfffd
	v_add_co_ci_u32_e32 v11, vcc_lo, v33, v5, vcc_lo
	v_lshlrev_b64_e32 v[12:13], 3, v[6:7]
	ds_load_2addr_b64 v[4:7], v14 offset0:118 offset1:181
	v_add_nc_u32_e32 v14, 0x2b5, v58
	v_lshlrev_b64_e32 v[8:9], 3, v[8:9]
	v_add_nc_u32_e32 v16, 0x2f4, v58
	v_add_nc_u32_e32 v18, 0x1400, v28
	v_add_co_u32 v12, vcc_lo, v32, v12
	v_lshlrev_b64_e32 v[14:15], 3, v[14:15]
	s_wait_alu 0xfffd
	v_add_co_ci_u32_e32 v13, vcc_lo, v33, v13, vcc_lo
	v_add_co_u32 v8, vcc_lo, v32, v8
	s_wait_alu 0xfffd
	v_add_co_ci_u32_e32 v9, vcc_lo, v33, v9, vcc_lo
	v_add_co_u32 v14, vcc_lo, v32, v14
	s_wait_alu 0xfffd
	v_add_co_ci_u32_e32 v15, vcc_lo, v33, v15, vcc_lo
	s_wait_dscnt 0x1
	s_clause 0x1
	global_store_b64 v[10:11], v[0:1], off
	global_store_b64 v[12:13], v[2:3], off
	s_wait_dscnt 0x0
	s_clause 0x1
	global_store_b64 v[8:9], v[4:5], off
	global_store_b64 v[14:15], v[6:7], off
	v_lshlrev_b64_e32 v[4:5], 3, v[16:17]
	v_dual_mov_b32 v7, v59 :: v_dual_add_nc_u32 v6, 0x333, v58
	v_add_nc_u32_e32 v14, 0x1800, v28
	ds_load_2addr_b64 v[0:3], v18 offset0:116 offset1:179
	v_add_nc_u32_e32 v8, 0x372, v58
	v_add_co_u32 v10, vcc_lo, v32, v4
	v_mov_b32_e32 v9, v59
	s_wait_alu 0xfffd
	v_add_co_ci_u32_e32 v11, vcc_lo, v33, v5, vcc_lo
	v_lshlrev_b64_e32 v[12:13], 3, v[6:7]
	ds_load_2addr_b64 v[4:7], v14 offset0:114 offset1:177
	v_dual_mov_b32 v15, v59 :: v_dual_add_nc_u32 v14, 0x3b1, v58
	v_lshlrev_b64_e32 v[8:9], 3, v[8:9]
	v_add_nc_u32_e32 v16, 0x3f0, v58
	v_add_co_u32 v12, vcc_lo, v32, v12
	s_delay_alu instid0(VALU_DEP_4)
	v_lshlrev_b64_e32 v[14:15], 3, v[14:15]
	s_wait_alu 0xfffd
	v_add_co_ci_u32_e32 v13, vcc_lo, v33, v13, vcc_lo
	v_add_co_u32 v8, vcc_lo, v32, v8
	s_wait_alu 0xfffd
	v_add_co_ci_u32_e32 v9, vcc_lo, v33, v9, vcc_lo
	v_add_co_u32 v14, vcc_lo, v32, v14
	s_wait_alu 0xfffd
	v_add_co_ci_u32_e32 v15, vcc_lo, v33, v15, vcc_lo
	v_add_nc_u32_e32 v18, 0x42f, v58
	s_wait_dscnt 0x1
	s_clause 0x1
	global_store_b64 v[10:11], v[0:1], off
	global_store_b64 v[12:13], v[2:3], off
	s_wait_dscnt 0x0
	s_clause 0x1
	global_store_b64 v[8:9], v[4:5], off
	global_store_b64 v[14:15], v[6:7], off
	v_mov_b32_e32 v15, v59
	v_lshlrev_b64_e32 v[4:5], 3, v[16:17]
	v_dual_mov_b32 v9, v59 :: v_dual_add_nc_u32 v8, 0x46e, v58
	v_lshlrev_b64_e32 v[6:7], 3, v[18:19]
	v_dual_mov_b32 v11, v59 :: v_dual_add_nc_u32 v10, 0x4ad, v58
	s_delay_alu instid0(VALU_DEP_4) | instskip(NEXT) | instid1(VALU_DEP_4)
	v_add_co_u32 v16, vcc_lo, v32, v4
	v_lshlrev_b64_e32 v[8:9], 3, v[8:9]
	s_wait_alu 0xfffd
	v_add_co_ci_u32_e32 v17, vcc_lo, v33, v5, vcc_lo
	v_add_co_u32 v18, vcc_lo, v32, v6
	s_wait_alu 0xfffd
	v_add_co_ci_u32_e32 v19, vcc_lo, v33, v7, vcc_lo
	ds_load_2addr_b64 v[0:3], v20 offset0:112 offset1:175
	v_add_co_u32 v20, vcc_lo, v32, v8
	v_dual_mov_b32 v13, v59 :: v_dual_add_nc_u32 v12, 0x4ec, v58
	s_wait_alu 0xfffd
	v_add_co_ci_u32_e32 v21, vcc_lo, v33, v9, vcc_lo
	v_lshlrev_b64_e32 v[8:9], 3, v[10:11]
	v_add_nc_u32_e32 v14, 0x52b, v58
	v_add_nc_u32_e32 v4, 0x2000, v28
	v_lshlrev_b64_e32 v[12:13], 3, v[12:13]
	v_add_nc_u32_e32 v10, 0x2400, v28
	v_add_nc_u32_e32 v58, 0x5a9, v58
	v_add_co_u32 v22, vcc_lo, v32, v8
	v_lshlrev_b64_e32 v[24:25], 3, v[14:15]
	v_add_nc_u32_e32 v14, 0x2800, v28
	ds_load_2addr_b64 v[4:7], v4 offset0:110 offset1:173
	s_wait_alu 0xfffd
	v_add_co_ci_u32_e32 v23, vcc_lo, v33, v9, vcc_lo
	ds_load_2addr_b64 v[8:11], v10 offset0:108 offset1:171
	v_add_co_u32 v28, vcc_lo, v32, v12
	s_wait_alu 0xfffd
	v_add_co_ci_u32_e32 v29, vcc_lo, v33, v13, vcc_lo
	ds_load_2addr_b64 v[12:15], v14 offset0:106 offset1:169
	v_lshlrev_b64_e32 v[26:27], 3, v[26:27]
	v_add_co_u32 v24, vcc_lo, v32, v24
	v_lshlrev_b64_e32 v[30:31], 3, v[58:59]
	s_wait_alu 0xfffd
	v_add_co_ci_u32_e32 v25, vcc_lo, v33, v25, vcc_lo
	s_delay_alu instid0(VALU_DEP_4)
	v_add_co_u32 v26, vcc_lo, v32, v26
	s_wait_alu 0xfffd
	v_add_co_ci_u32_e32 v27, vcc_lo, v33, v27, vcc_lo
	v_add_co_u32 v30, vcc_lo, v32, v30
	s_wait_alu 0xfffd
	v_add_co_ci_u32_e32 v31, vcc_lo, v33, v31, vcc_lo
	s_wait_dscnt 0x3
	s_clause 0x1
	global_store_b64 v[16:17], v[0:1], off
	global_store_b64 v[18:19], v[2:3], off
	s_wait_dscnt 0x2
	s_clause 0x1
	global_store_b64 v[20:21], v[4:5], off
	global_store_b64 v[22:23], v[6:7], off
	;; [unrolled: 4-line block ×4, first 2 shown]
.LBB0_25:
	s_nop 0
	s_sendmsg sendmsg(MSG_DEALLOC_VGPRS)
	s_endpgm
	.section	.rodata,"a",@progbits
	.p2align	6, 0x0
	.amdhsa_kernel fft_rtc_fwd_len1512_factors_2_2_2_3_3_3_7_wgs_63_tpt_63_halfLds_sp_op_CI_CI_unitstride_sbrr_C2R_dirReg
		.amdhsa_group_segment_fixed_size 0
		.amdhsa_private_segment_fixed_size 0
		.amdhsa_kernarg_size 104
		.amdhsa_user_sgpr_count 2
		.amdhsa_user_sgpr_dispatch_ptr 0
		.amdhsa_user_sgpr_queue_ptr 0
		.amdhsa_user_sgpr_kernarg_segment_ptr 1
		.amdhsa_user_sgpr_dispatch_id 0
		.amdhsa_user_sgpr_private_segment_size 0
		.amdhsa_wavefront_size32 1
		.amdhsa_uses_dynamic_stack 0
		.amdhsa_enable_private_segment 0
		.amdhsa_system_sgpr_workgroup_id_x 1
		.amdhsa_system_sgpr_workgroup_id_y 0
		.amdhsa_system_sgpr_workgroup_id_z 0
		.amdhsa_system_sgpr_workgroup_info 0
		.amdhsa_system_vgpr_workitem_id 0
		.amdhsa_next_free_vgpr 126
		.amdhsa_next_free_sgpr 39
		.amdhsa_reserve_vcc 1
		.amdhsa_float_round_mode_32 0
		.amdhsa_float_round_mode_16_64 0
		.amdhsa_float_denorm_mode_32 3
		.amdhsa_float_denorm_mode_16_64 3
		.amdhsa_fp16_overflow 0
		.amdhsa_workgroup_processor_mode 1
		.amdhsa_memory_ordered 1
		.amdhsa_forward_progress 0
		.amdhsa_round_robin_scheduling 0
		.amdhsa_exception_fp_ieee_invalid_op 0
		.amdhsa_exception_fp_denorm_src 0
		.amdhsa_exception_fp_ieee_div_zero 0
		.amdhsa_exception_fp_ieee_overflow 0
		.amdhsa_exception_fp_ieee_underflow 0
		.amdhsa_exception_fp_ieee_inexact 0
		.amdhsa_exception_int_div_zero 0
	.end_amdhsa_kernel
	.text
.Lfunc_end0:
	.size	fft_rtc_fwd_len1512_factors_2_2_2_3_3_3_7_wgs_63_tpt_63_halfLds_sp_op_CI_CI_unitstride_sbrr_C2R_dirReg, .Lfunc_end0-fft_rtc_fwd_len1512_factors_2_2_2_3_3_3_7_wgs_63_tpt_63_halfLds_sp_op_CI_CI_unitstride_sbrr_C2R_dirReg
                                        ; -- End function
	.section	.AMDGPU.csdata,"",@progbits
; Kernel info:
; codeLenInByte = 17380
; NumSgprs: 41
; NumVgprs: 126
; ScratchSize: 0
; MemoryBound: 0
; FloatMode: 240
; IeeeMode: 1
; LDSByteSize: 0 bytes/workgroup (compile time only)
; SGPRBlocks: 5
; VGPRBlocks: 15
; NumSGPRsForWavesPerEU: 41
; NumVGPRsForWavesPerEU: 126
; Occupancy: 10
; WaveLimiterHint : 1
; COMPUTE_PGM_RSRC2:SCRATCH_EN: 0
; COMPUTE_PGM_RSRC2:USER_SGPR: 2
; COMPUTE_PGM_RSRC2:TRAP_HANDLER: 0
; COMPUTE_PGM_RSRC2:TGID_X_EN: 1
; COMPUTE_PGM_RSRC2:TGID_Y_EN: 0
; COMPUTE_PGM_RSRC2:TGID_Z_EN: 0
; COMPUTE_PGM_RSRC2:TIDIG_COMP_CNT: 0
	.text
	.p2alignl 7, 3214868480
	.fill 96, 4, 3214868480
	.type	__hip_cuid_2d44706f7122277b,@object ; @__hip_cuid_2d44706f7122277b
	.section	.bss,"aw",@nobits
	.globl	__hip_cuid_2d44706f7122277b
__hip_cuid_2d44706f7122277b:
	.byte	0                               ; 0x0
	.size	__hip_cuid_2d44706f7122277b, 1

	.ident	"AMD clang version 19.0.0git (https://github.com/RadeonOpenCompute/llvm-project roc-6.4.0 25133 c7fe45cf4b819c5991fe208aaa96edf142730f1d)"
	.section	".note.GNU-stack","",@progbits
	.addrsig
	.addrsig_sym __hip_cuid_2d44706f7122277b
	.amdgpu_metadata
---
amdhsa.kernels:
  - .args:
      - .actual_access:  read_only
        .address_space:  global
        .offset:         0
        .size:           8
        .value_kind:     global_buffer
      - .offset:         8
        .size:           8
        .value_kind:     by_value
      - .actual_access:  read_only
        .address_space:  global
        .offset:         16
        .size:           8
        .value_kind:     global_buffer
      - .actual_access:  read_only
        .address_space:  global
        .offset:         24
        .size:           8
        .value_kind:     global_buffer
      - .actual_access:  read_only
        .address_space:  global
        .offset:         32
        .size:           8
        .value_kind:     global_buffer
      - .offset:         40
        .size:           8
        .value_kind:     by_value
      - .actual_access:  read_only
        .address_space:  global
        .offset:         48
        .size:           8
        .value_kind:     global_buffer
      - .actual_access:  read_only
        .address_space:  global
        .offset:         56
        .size:           8
        .value_kind:     global_buffer
      - .offset:         64
        .size:           4
        .value_kind:     by_value
      - .actual_access:  read_only
        .address_space:  global
        .offset:         72
        .size:           8
        .value_kind:     global_buffer
      - .actual_access:  read_only
        .address_space:  global
        .offset:         80
        .size:           8
        .value_kind:     global_buffer
      - .actual_access:  read_only
        .address_space:  global
        .offset:         88
        .size:           8
        .value_kind:     global_buffer
      - .actual_access:  write_only
        .address_space:  global
        .offset:         96
        .size:           8
        .value_kind:     global_buffer
    .group_segment_fixed_size: 0
    .kernarg_segment_align: 8
    .kernarg_segment_size: 104
    .language:       OpenCL C
    .language_version:
      - 2
      - 0
    .max_flat_workgroup_size: 63
    .name:           fft_rtc_fwd_len1512_factors_2_2_2_3_3_3_7_wgs_63_tpt_63_halfLds_sp_op_CI_CI_unitstride_sbrr_C2R_dirReg
    .private_segment_fixed_size: 0
    .sgpr_count:     41
    .sgpr_spill_count: 0
    .symbol:         fft_rtc_fwd_len1512_factors_2_2_2_3_3_3_7_wgs_63_tpt_63_halfLds_sp_op_CI_CI_unitstride_sbrr_C2R_dirReg.kd
    .uniform_work_group_size: 1
    .uses_dynamic_stack: false
    .vgpr_count:     126
    .vgpr_spill_count: 0
    .wavefront_size: 32
    .workgroup_processor_mode: 1
amdhsa.target:   amdgcn-amd-amdhsa--gfx1201
amdhsa.version:
  - 1
  - 2
...

	.end_amdgpu_metadata
